;; amdgpu-corpus repo=ROCm/rocFFT kind=compiled arch=gfx906 opt=O3
	.text
	.amdgcn_target "amdgcn-amd-amdhsa--gfx906"
	.amdhsa_code_object_version 6
	.protected	fft_rtc_fwd_len1530_factors_17_3_6_5_wgs_102_tpt_102_halfLds_dp_op_CI_CI_unitstride_sbrr_R2C_dirReg ; -- Begin function fft_rtc_fwd_len1530_factors_17_3_6_5_wgs_102_tpt_102_halfLds_dp_op_CI_CI_unitstride_sbrr_R2C_dirReg
	.globl	fft_rtc_fwd_len1530_factors_17_3_6_5_wgs_102_tpt_102_halfLds_dp_op_CI_CI_unitstride_sbrr_R2C_dirReg
	.p2align	8
	.type	fft_rtc_fwd_len1530_factors_17_3_6_5_wgs_102_tpt_102_halfLds_dp_op_CI_CI_unitstride_sbrr_R2C_dirReg,@function
fft_rtc_fwd_len1530_factors_17_3_6_5_wgs_102_tpt_102_halfLds_dp_op_CI_CI_unitstride_sbrr_R2C_dirReg: ; @fft_rtc_fwd_len1530_factors_17_3_6_5_wgs_102_tpt_102_halfLds_dp_op_CI_CI_unitstride_sbrr_R2C_dirReg
; %bb.0:
	s_load_dwordx4 s[8:11], s[4:5], 0x58
	s_load_dwordx4 s[12:15], s[4:5], 0x0
	;; [unrolled: 1-line block ×3, first 2 shown]
	s_mov_b64 s[62:63], s[2:3]
	s_mov_b64 s[60:61], s[0:1]
	v_mul_u32_u24_e32 v1, 0x283, v0
	s_waitcnt lgkmcnt(0)
	v_cmp_lt_u64_e64 s[0:1], s[14:15], 2
	s_add_u32 s60, s60, s7
	v_add_u32_sdwa v5, s6, v1 dst_sel:DWORD dst_unused:UNUSED_PAD src0_sel:DWORD src1_sel:WORD_1
	v_mov_b32_e32 v3, 0
	v_mov_b32_e32 v1, 0
	s_addc_u32 s61, s61, 0
	v_mov_b32_e32 v6, v3
	s_and_b64 vcc, exec, s[0:1]
	v_mov_b32_e32 v2, 0
	s_cbranch_vccnz .LBB0_8
; %bb.1:
	s_load_dwordx2 s[0:1], s[4:5], 0x10
	s_add_u32 s2, s18, 8
	s_addc_u32 s3, s19, 0
	s_add_u32 s6, s16, 8
	v_mov_b32_e32 v1, 0
	s_addc_u32 s7, s17, 0
	v_mov_b32_e32 v2, 0
	s_waitcnt lgkmcnt(0)
	s_add_u32 s20, s0, 8
	v_mov_b32_e32 v109, v2
	s_addc_u32 s21, s1, 0
	s_mov_b64 s[22:23], 1
	v_mov_b32_e32 v108, v1
.LBB0_2:                                ; =>This Inner Loop Header: Depth=1
	s_load_dwordx2 s[24:25], s[20:21], 0x0
                                        ; implicit-def: $vgpr112_vgpr113
	s_waitcnt lgkmcnt(0)
	v_or_b32_e32 v4, s25, v6
	v_cmp_ne_u64_e32 vcc, 0, v[3:4]
	s_and_saveexec_b64 s[0:1], vcc
	s_xor_b64 s[26:27], exec, s[0:1]
	s_cbranch_execz .LBB0_4
; %bb.3:                                ;   in Loop: Header=BB0_2 Depth=1
	v_cvt_f32_u32_e32 v4, s24
	v_cvt_f32_u32_e32 v7, s25
	s_sub_u32 s0, 0, s24
	s_subb_u32 s1, 0, s25
	v_mac_f32_e32 v4, 0x4f800000, v7
	v_rcp_f32_e32 v4, v4
	v_mul_f32_e32 v4, 0x5f7ffffc, v4
	v_mul_f32_e32 v7, 0x2f800000, v4
	v_trunc_f32_e32 v7, v7
	v_mac_f32_e32 v4, 0xcf800000, v7
	v_cvt_u32_f32_e32 v7, v7
	v_cvt_u32_f32_e32 v4, v4
	v_mul_lo_u32 v8, s0, v7
	v_mul_hi_u32 v9, s0, v4
	v_mul_lo_u32 v11, s1, v4
	v_mul_lo_u32 v10, s0, v4
	v_add_u32_e32 v8, v9, v8
	v_add_u32_e32 v8, v8, v11
	v_mul_hi_u32 v9, v4, v10
	v_mul_lo_u32 v11, v4, v8
	v_mul_hi_u32 v13, v4, v8
	v_mul_hi_u32 v12, v7, v10
	v_mul_lo_u32 v10, v7, v10
	v_mul_hi_u32 v14, v7, v8
	v_add_co_u32_e32 v9, vcc, v9, v11
	v_addc_co_u32_e32 v11, vcc, 0, v13, vcc
	v_mul_lo_u32 v8, v7, v8
	v_add_co_u32_e32 v9, vcc, v9, v10
	v_addc_co_u32_e32 v9, vcc, v11, v12, vcc
	v_addc_co_u32_e32 v10, vcc, 0, v14, vcc
	v_add_co_u32_e32 v8, vcc, v9, v8
	v_addc_co_u32_e32 v9, vcc, 0, v10, vcc
	v_add_co_u32_e32 v4, vcc, v4, v8
	v_addc_co_u32_e32 v7, vcc, v7, v9, vcc
	v_mul_lo_u32 v8, s0, v7
	v_mul_hi_u32 v9, s0, v4
	v_mul_lo_u32 v10, s1, v4
	v_mul_lo_u32 v11, s0, v4
	v_add_u32_e32 v8, v9, v8
	v_add_u32_e32 v8, v8, v10
	v_mul_lo_u32 v12, v4, v8
	v_mul_hi_u32 v13, v4, v11
	v_mul_hi_u32 v14, v4, v8
	;; [unrolled: 1-line block ×3, first 2 shown]
	v_mul_lo_u32 v11, v7, v11
	v_mul_hi_u32 v9, v7, v8
	v_add_co_u32_e32 v12, vcc, v13, v12
	v_addc_co_u32_e32 v13, vcc, 0, v14, vcc
	v_mul_lo_u32 v8, v7, v8
	v_add_co_u32_e32 v11, vcc, v12, v11
	v_addc_co_u32_e32 v10, vcc, v13, v10, vcc
	v_addc_co_u32_e32 v9, vcc, 0, v9, vcc
	v_add_co_u32_e32 v8, vcc, v10, v8
	v_addc_co_u32_e32 v9, vcc, 0, v9, vcc
	v_add_co_u32_e32 v4, vcc, v4, v8
	v_addc_co_u32_e32 v9, vcc, v7, v9, vcc
	v_mad_u64_u32 v[7:8], s[0:1], v5, v9, 0
	v_mul_hi_u32 v10, v5, v4
	v_add_co_u32_e32 v11, vcc, v10, v7
	v_addc_co_u32_e32 v12, vcc, 0, v8, vcc
	v_mad_u64_u32 v[7:8], s[0:1], v6, v4, 0
	v_mad_u64_u32 v[9:10], s[0:1], v6, v9, 0
	v_add_co_u32_e32 v4, vcc, v11, v7
	v_addc_co_u32_e32 v4, vcc, v12, v8, vcc
	v_addc_co_u32_e32 v7, vcc, 0, v10, vcc
	v_add_co_u32_e32 v4, vcc, v4, v9
	v_addc_co_u32_e32 v9, vcc, 0, v7, vcc
	v_mul_lo_u32 v10, s25, v4
	v_mul_lo_u32 v11, s24, v9
	v_mad_u64_u32 v[7:8], s[0:1], s24, v4, 0
	v_add3_u32 v8, v8, v11, v10
	v_sub_u32_e32 v10, v6, v8
	v_mov_b32_e32 v11, s25
	v_sub_co_u32_e32 v7, vcc, v5, v7
	v_subb_co_u32_e64 v10, s[0:1], v10, v11, vcc
	v_subrev_co_u32_e64 v11, s[0:1], s24, v7
	v_subbrev_co_u32_e64 v10, s[0:1], 0, v10, s[0:1]
	v_cmp_le_u32_e64 s[0:1], s25, v10
	v_cndmask_b32_e64 v12, 0, -1, s[0:1]
	v_cmp_le_u32_e64 s[0:1], s24, v11
	v_cndmask_b32_e64 v11, 0, -1, s[0:1]
	v_cmp_eq_u32_e64 s[0:1], s25, v10
	v_cndmask_b32_e64 v10, v12, v11, s[0:1]
	v_add_co_u32_e64 v11, s[0:1], 2, v4
	v_addc_co_u32_e64 v12, s[0:1], 0, v9, s[0:1]
	v_add_co_u32_e64 v13, s[0:1], 1, v4
	v_addc_co_u32_e64 v14, s[0:1], 0, v9, s[0:1]
	v_subb_co_u32_e32 v8, vcc, v6, v8, vcc
	v_cmp_ne_u32_e64 s[0:1], 0, v10
	v_cmp_le_u32_e32 vcc, s25, v8
	v_cndmask_b32_e64 v10, v14, v12, s[0:1]
	v_cndmask_b32_e64 v12, 0, -1, vcc
	v_cmp_le_u32_e32 vcc, s24, v7
	v_cndmask_b32_e64 v7, 0, -1, vcc
	v_cmp_eq_u32_e32 vcc, s25, v8
	v_cndmask_b32_e32 v7, v12, v7, vcc
	v_cmp_ne_u32_e32 vcc, 0, v7
	v_cndmask_b32_e64 v7, v13, v11, s[0:1]
	v_cndmask_b32_e32 v113, v9, v10, vcc
	v_cndmask_b32_e32 v112, v4, v7, vcc
.LBB0_4:                                ;   in Loop: Header=BB0_2 Depth=1
	s_andn2_saveexec_b64 s[0:1], s[26:27]
	s_cbranch_execz .LBB0_6
; %bb.5:                                ;   in Loop: Header=BB0_2 Depth=1
	v_cvt_f32_u32_e32 v4, s24
	s_sub_i32 s26, 0, s24
	v_mov_b32_e32 v113, v3
	v_rcp_iflag_f32_e32 v4, v4
	v_mul_f32_e32 v4, 0x4f7ffffe, v4
	v_cvt_u32_f32_e32 v4, v4
	v_mul_lo_u32 v7, s26, v4
	v_mul_hi_u32 v7, v4, v7
	v_add_u32_e32 v4, v4, v7
	v_mul_hi_u32 v4, v5, v4
	v_mul_lo_u32 v7, v4, s24
	v_add_u32_e32 v8, 1, v4
	v_sub_u32_e32 v7, v5, v7
	v_subrev_u32_e32 v9, s24, v7
	v_cmp_le_u32_e32 vcc, s24, v7
	v_cndmask_b32_e32 v7, v7, v9, vcc
	v_cndmask_b32_e32 v4, v4, v8, vcc
	v_add_u32_e32 v8, 1, v4
	v_cmp_le_u32_e32 vcc, s24, v7
	v_cndmask_b32_e32 v112, v4, v8, vcc
.LBB0_6:                                ;   in Loop: Header=BB0_2 Depth=1
	s_or_b64 exec, exec, s[0:1]
	v_mul_lo_u32 v4, v113, s24
	v_mul_lo_u32 v9, v112, s25
	v_mad_u64_u32 v[7:8], s[0:1], v112, s24, 0
	s_load_dwordx2 s[0:1], s[6:7], 0x0
	s_load_dwordx2 s[24:25], s[2:3], 0x0
	v_add3_u32 v4, v8, v9, v4
	v_sub_co_u32_e32 v5, vcc, v5, v7
	v_subb_co_u32_e32 v4, vcc, v6, v4, vcc
	s_waitcnt lgkmcnt(0)
	v_mul_lo_u32 v6, s0, v4
	v_mul_lo_u32 v7, s1, v5
	v_mad_u64_u32 v[1:2], s[0:1], s0, v5, v[1:2]
	v_mul_lo_u32 v4, s24, v4
	v_mul_lo_u32 v8, s25, v5
	v_mad_u64_u32 v[108:109], s[0:1], s24, v5, v[108:109]
	s_add_u32 s22, s22, 1
	s_addc_u32 s23, s23, 0
	s_add_u32 s2, s2, 8
	v_add3_u32 v109, v8, v109, v4
	s_addc_u32 s3, s3, 0
	v_mov_b32_e32 v4, s14
	s_add_u32 s6, s6, 8
	v_mov_b32_e32 v5, s15
	s_addc_u32 s7, s7, 0
	v_cmp_ge_u64_e32 vcc, s[22:23], v[4:5]
	s_add_u32 s20, s20, 8
	v_add3_u32 v2, v7, v2, v6
	s_addc_u32 s21, s21, 0
	s_cbranch_vccnz .LBB0_9
; %bb.7:                                ;   in Loop: Header=BB0_2 Depth=1
	v_mov_b32_e32 v5, v112
	v_mov_b32_e32 v6, v113
	s_branch .LBB0_2
.LBB0_8:
	v_mov_b32_e32 v109, v2
	v_mov_b32_e32 v113, v6
	;; [unrolled: 1-line block ×4, first 2 shown]
.LBB0_9:
	s_load_dwordx2 s[4:5], s[4:5], 0x28
	s_lshl_b64 s[6:7], s[14:15], 3
	s_add_u32 s2, s18, s6
	s_addc_u32 s3, s19, s7
                                        ; implicit-def: $vgpr110
	s_waitcnt lgkmcnt(0)
	v_cmp_gt_u64_e64 s[0:1], s[4:5], v[112:113]
	v_cmp_le_u64_e32 vcc, s[4:5], v[112:113]
	s_and_saveexec_b64 s[4:5], vcc
	s_xor_b64 s[4:5], exec, s[4:5]
; %bb.10:
	s_mov_b32 s14, 0x2828283
	v_mul_hi_u32 v1, v0, s14
	v_mul_u32_u24_e32 v1, 0x66, v1
	v_sub_u32_e32 v110, v0, v1
                                        ; implicit-def: $vgpr0
                                        ; implicit-def: $vgpr1_vgpr2
; %bb.11:
	s_andn2_saveexec_b64 s[4:5], s[4:5]
	s_cbranch_execz .LBB0_13
; %bb.12:
	s_add_u32 s6, s16, s6
	s_addc_u32 s7, s17, s7
	s_load_dwordx2 s[6:7], s[6:7], 0x0
	s_mov_b32 s14, 0x2828283
	v_mul_hi_u32 v5, v0, s14
	s_waitcnt lgkmcnt(0)
	v_mul_lo_u32 v6, s7, v112
	v_mul_lo_u32 v7, s6, v113
	v_mad_u64_u32 v[3:4], s[6:7], s6, v112, 0
	v_mul_u32_u24_e32 v5, 0x66, v5
	v_sub_u32_e32 v110, v0, v5
	v_add3_u32 v4, v4, v7, v6
	v_lshlrev_b64 v[3:4], 4, v[3:4]
	v_mov_b32_e32 v0, s9
	v_add_co_u32_e32 v3, vcc, s8, v3
	v_addc_co_u32_e32 v4, vcc, v0, v4, vcc
	v_lshlrev_b64 v[0:1], 4, v[1:2]
	v_lshlrev_b32_e32 v64, 4, v110
	v_add_co_u32_e32 v0, vcc, v3, v0
	v_addc_co_u32_e32 v1, vcc, v4, v1, vcc
	v_add_co_u32_e32 v47, vcc, v0, v64
	v_addc_co_u32_e32 v48, vcc, 0, v1, vcc
	s_movk_i32 s6, 0x1000
	v_add_co_u32_e32 v24, vcc, s6, v47
	v_addc_co_u32_e32 v25, vcc, 0, v48, vcc
	s_movk_i32 s6, 0x2000
	v_add_co_u32_e32 v32, vcc, s6, v47
	s_movk_i32 s7, 0x3000
	v_addc_co_u32_e32 v33, vcc, 0, v48, vcc
	v_add_co_u32_e32 v49, vcc, s7, v47
	v_addc_co_u32_e32 v50, vcc, 0, v48, vcc
	v_add_co_u32_e32 v60, vcc, 0x4000, v47
	;; [unrolled: 2-line block ×3, first 2 shown]
	global_load_dwordx4 v[0:3], v[47:48], off
	global_load_dwordx4 v[4:7], v[47:48], off offset:1632
	global_load_dwordx4 v[8:11], v[47:48], off offset:3264
	;; [unrolled: 1-line block ×5, first 2 shown]
	s_nop 0
	global_load_dwordx4 v[24:27], v[32:33], off offset:1600
	global_load_dwordx4 v[28:31], v[32:33], off offset:3232
	s_nop 0
	global_load_dwordx4 v[32:35], v[49:50], off offset:768
	global_load_dwordx4 v[36:39], v[49:50], off offset:2400
	;; [unrolled: 1-line block ×4, first 2 shown]
	v_addc_co_u32_e32 v63, vcc, 0, v48, vcc
	global_load_dwordx4 v[48:51], v[60:61], off offset:3200
	global_load_dwordx4 v[52:55], v[62:63], off offset:736
	global_load_dwordx4 v[56:59], v[62:63], off offset:2368
	v_add_u32_e32 v60, 0, v64
	s_waitcnt vmcnt(14)
	ds_write_b128 v60, v[0:3]
	s_waitcnt vmcnt(13)
	ds_write_b128 v60, v[4:7] offset:1632
	s_waitcnt vmcnt(12)
	ds_write_b128 v60, v[8:11] offset:3264
	;; [unrolled: 2-line block ×14, first 2 shown]
.LBB0_13:
	s_or_b64 exec, exec, s[4:5]
	v_lshl_add_u32 v242, v110, 4, 0
	s_waitcnt lgkmcnt(0)
	s_barrier
	ds_read_b128 v[8:11], v242 offset:23040
	ds_read_b128 v[56:59], v242 offset:1440
	ds_read_b128 v[16:19], v242
	ds_read_b128 v[12:15], v242 offset:21600
	ds_read_b128 v[72:75], v242 offset:2880
	s_mov_b32 s8, 0x5d8e7cdc
	s_waitcnt lgkmcnt(3)
	v_add_f64 v[166:167], v[58:59], -v[10:11]
	v_add_f64 v[152:153], v[56:57], -v[8:9]
	s_mov_b32 s9, 0xbfd71e95
	v_add_f64 v[126:127], v[56:57], v[8:9]
	s_waitcnt lgkmcnt(0)
	v_add_f64 v[168:169], v[74:75], -v[14:15]
	v_add_f64 v[146:147], v[58:59], v[10:11]
	v_add_f64 v[154:155], v[72:73], -v[12:13]
	ds_read_b128 v[64:67], v242 offset:4320
	ds_read_b128 v[20:23], v242 offset:20160
	v_mul_f64 v[88:89], v[166:167], s[8:9]
	v_mul_f64 v[92:93], v[152:153], s[8:9]
	s_mov_b32 s4, 0x370991
	s_mov_b32 s18, 0x2a9d6da3
	;; [unrolled: 1-line block ×4, first 2 shown]
	v_add_f64 v[132:133], v[72:73], v[12:13]
	v_mul_f64 v[90:91], v[168:169], s[18:19]
	v_fma_f64 v[0:1], v[126:127], s[4:5], v[88:89]
	v_fma_f64 v[2:3], v[146:147], s[4:5], -v[92:93]
	v_add_f64 v[140:141], v[74:75], v[14:15]
	v_mul_f64 v[94:95], v[154:155], s[18:19]
	s_waitcnt lgkmcnt(0)
	v_add_f64 v[170:171], v[66:67], -v[22:23]
	v_add_f64 v[156:157], v[64:65], -v[20:21]
	ds_read_b128 v[24:27], v242 offset:18720
	ds_read_b128 v[68:71], v242 offset:5760
	s_mov_b32 s6, 0x75d4884
	s_mov_b32 s24, 0x7c9e640b
	;; [unrolled: 1-line block ×4, first 2 shown]
	v_add_f64 v[0:1], v[16:17], v[0:1]
	v_fma_f64 v[4:5], v[132:133], s[6:7], v[90:91]
	v_add_f64 v[2:3], v[18:19], v[2:3]
	v_fma_f64 v[6:7], v[140:141], s[6:7], -v[94:95]
	v_add_f64 v[136:137], v[64:65], v[20:21]
	v_mul_f64 v[96:97], v[170:171], s[24:25]
	v_add_f64 v[142:143], v[66:67], v[22:23]
	v_mul_f64 v[98:99], v[156:157], s[24:25]
	s_waitcnt lgkmcnt(0)
	v_add_f64 v[206:207], v[70:71], -v[26:27]
	v_add_f64 v[186:187], v[68:69], -v[24:25]
	ds_read_b128 v[60:63], v242 offset:7200
	ds_read_b128 v[28:31], v242 offset:17280
	s_mov_b32 s16, 0x2b2883cd
	s_mov_b32 s22, 0xeb564b22
	;; [unrolled: 1-line block ×4, first 2 shown]
	v_add_f64 v[0:1], v[4:5], v[0:1]
	v_add_f64 v[2:3], v[6:7], v[2:3]
	v_fma_f64 v[4:5], v[136:137], s[16:17], v[96:97]
	v_fma_f64 v[6:7], v[142:143], s[16:17], -v[98:99]
	v_add_f64 v[160:161], v[68:69], v[24:25]
	v_mul_f64 v[100:101], v[206:207], s[22:23]
	v_add_f64 v[162:163], v[70:71], v[26:27]
	v_mul_f64 v[102:103], v[186:187], s[22:23]
	s_waitcnt lgkmcnt(0)
	v_add_f64 v[204:205], v[62:63], -v[30:31]
	v_add_f64 v[198:199], v[60:61], -v[28:29]
	ds_read_b128 v[32:35], v242 offset:15840
	ds_read_b128 v[36:39], v242 offset:8640
	s_mov_b32 s14, 0x3259b75e
	s_mov_b32 s40, 0x923c349f
	;; [unrolled: 1-line block ×4, first 2 shown]
	v_add_f64 v[0:1], v[4:5], v[0:1]
	v_add_f64 v[2:3], v[6:7], v[2:3]
	v_fma_f64 v[4:5], v[160:161], s[14:15], v[100:101]
	v_fma_f64 v[6:7], v[162:163], s[14:15], -v[102:103]
	v_add_f64 v[144:145], v[60:61], v[28:29]
	v_mul_f64 v[104:105], v[204:205], s[40:41]
	v_add_f64 v[164:165], v[62:63], v[30:31]
	v_mul_f64 v[138:139], v[198:199], s[40:41]
	s_waitcnt lgkmcnt(0)
	v_add_f64 v[236:237], v[38:39], -v[34:35]
	v_add_f64 v[216:217], v[36:37], -v[32:33]
	s_mov_b32 s28, 0xc61f0d01
	s_mov_b32 s42, 0x6c9a05f6
	;; [unrolled: 1-line block ×4, first 2 shown]
	v_add_f64 v[0:1], v[4:5], v[0:1]
	v_add_f64 v[2:3], v[6:7], v[2:3]
	v_fma_f64 v[4:5], v[144:145], s[28:29], v[104:105]
	v_fma_f64 v[6:7], v[164:165], s[28:29], -v[138:139]
	v_add_f64 v[158:159], v[36:37], v[32:33]
	v_mul_f64 v[148:149], v[236:237], s[42:43]
	v_add_f64 v[200:201], v[38:39], v[34:35]
	v_mul_f64 v[150:151], v[216:217], s[42:43]
	s_mov_b32 s34, 0x6ed5f1bb
	s_mov_b32 s35, 0xbfe348c8
	v_add_f64 v[0:1], v[4:5], v[0:1]
	v_add_f64 v[2:3], v[6:7], v[2:3]
	v_mul_f64 v[174:175], v[166:167], s[18:19]
	v_fma_f64 v[4:5], v[158:159], s[34:35], v[148:149]
	v_mul_f64 v[232:233], v[152:153], s[18:19]
	v_fma_f64 v[6:7], v[200:201], s[34:35], -v[150:151]
	v_mul_f64 v[176:177], v[168:169], s[22:23]
	v_mul_f64 v[226:227], v[154:155], s[22:23]
	;; [unrolled: 1-line block ×4, first 2 shown]
	s_mov_b32 s48, 0xacd6c6b4
	v_add_f64 v[0:1], v[4:5], v[0:1]
	v_fma_f64 v[4:5], v[126:127], s[6:7], v[174:175]
	v_add_f64 v[2:3], v[6:7], v[2:3]
	v_fma_f64 v[6:7], v[146:147], s[6:7], -v[232:233]
	v_fma_f64 v[48:49], v[132:133], s[14:15], v[176:177]
	v_fma_f64 v[50:51], v[140:141], s[14:15], -v[226:227]
	s_mov_b32 s49, 0xbfc7851a
	v_mul_f64 v[182:183], v[206:207], s[48:49]
	v_mul_f64 v[222:223], v[186:187], s[48:49]
	v_add_f64 v[4:5], v[16:17], v[4:5]
	s_mov_b32 s36, 0x4363dd80
	v_add_f64 v[6:7], v[18:19], v[6:7]
	s_mov_b32 s38, 0x7faef3
	s_mov_b32 s37, 0x3fe0d888
	;; [unrolled: 1-line block ×3, first 2 shown]
	v_fma_f64 v[76:77], v[160:161], s[38:39], v[182:183]
	v_fma_f64 v[78:79], v[162:163], s[38:39], -v[222:223]
	v_add_f64 v[4:5], v[48:49], v[4:5]
	v_fma_f64 v[48:49], v[136:137], s[34:35], v[180:181]
	v_add_f64 v[6:7], v[50:51], v[6:7]
	v_fma_f64 v[50:51], v[142:143], s[34:35], -v[224:225]
	v_mul_f64 v[184:185], v[204:205], s[36:37]
	v_mul_f64 v[220:221], v[198:199], s[36:37]
	ds_read_b128 v[44:47], v242 offset:10080
	ds_read_b128 v[40:43], v242 offset:14400
	s_mov_b32 s26, 0x910ea3b9
	s_mov_b32 s27, 0xbfeb34fa
	v_add_f64 v[4:5], v[48:49], v[4:5]
	s_mov_b32 s45, 0x3feec746
	v_add_f64 v[6:7], v[50:51], v[6:7]
	s_mov_b32 s44, s40
	s_waitcnt lgkmcnt(0)
	v_add_f64 v[240:241], v[46:47], -v[42:43]
	v_add_f64 v[238:239], v[44:45], -v[40:41]
	v_mul_f64 v[188:189], v[236:237], s[44:45]
	v_mul_f64 v[212:213], v[216:217], s[44:45]
	v_add_f64 v[4:5], v[76:77], v[4:5]
	v_fma_f64 v[76:77], v[144:145], s[26:27], v[184:185]
	v_add_f64 v[6:7], v[78:79], v[6:7]
	v_fma_f64 v[78:79], v[164:165], s[26:27], -v[220:221]
	ds_read_b128 v[52:55], v242 offset:11520
	ds_read_b128 v[48:51], v242 offset:12960
	s_mov_b32 s31, 0xbfe0d888
	s_mov_b32 s30, s36
	;; [unrolled: 1-line block ×4, first 2 shown]
	v_add_f64 v[194:195], v[44:45], v[40:41]
	v_mul_f64 v[172:173], v[240:241], s[30:31]
	v_add_f64 v[228:229], v[46:47], v[42:43]
	v_mul_f64 v[178:179], v[238:239], s[30:31]
	s_waitcnt lgkmcnt(0)
	v_add_f64 v[230:231], v[54:55], -v[50:51]
	v_add_f64 v[208:209], v[52:53], -v[48:49]
	v_add_f64 v[4:5], v[76:77], v[4:5]
	v_add_f64 v[6:7], v[78:79], v[6:7]
	v_fma_f64 v[76:77], v[158:159], s[28:29], v[188:189]
	v_fma_f64 v[78:79], v[200:201], s[28:29], -v[212:213]
	v_mul_f64 v[196:197], v[240:241], s[56:57]
	v_mul_f64 v[214:215], v[238:239], s[56:57]
	s_mov_b32 s47, 0x3fd71e95
	s_mov_b32 s46, s8
	v_fma_f64 v[80:81], v[194:195], s[26:27], v[172:173]
	v_fma_f64 v[82:83], v[228:229], s[26:27], -v[178:179]
	v_add_f64 v[210:211], v[52:53], v[48:49]
	v_mul_f64 v[190:191], v[230:231], s[48:49]
	v_add_f64 v[234:235], v[54:55], v[50:51]
	v_mul_f64 v[192:193], v[208:209], s[48:49]
	v_add_f64 v[4:5], v[76:77], v[4:5]
	v_add_f64 v[6:7], v[78:79], v[6:7]
	v_fma_f64 v[76:77], v[194:195], s[16:17], v[196:197]
	v_fma_f64 v[78:79], v[228:229], s[16:17], -v[214:215]
	v_mul_f64 v[202:203], v[230:231], s[46:47]
	v_mul_f64 v[218:219], v[208:209], s[46:47]
	v_add_f64 v[0:1], v[80:81], v[0:1]
	v_add_f64 v[2:3], v[82:83], v[2:3]
	v_fma_f64 v[80:81], v[210:211], s[38:39], v[190:191]
	v_fma_f64 v[82:83], v[234:235], s[38:39], -v[192:193]
	v_add_f64 v[76:77], v[76:77], v[4:5]
	v_add_f64 v[78:79], v[78:79], v[6:7]
	v_fma_f64 v[84:85], v[210:211], s[4:5], v[202:203]
	v_fma_f64 v[86:87], v[234:235], s[4:5], -v[218:219]
	s_movk_i32 s20, 0x5a
	v_cmp_gt_u32_e32 vcc, s20, v110
	v_add_f64 v[4:5], v[80:81], v[0:1]
	v_add_f64 v[6:7], v[82:83], v[2:3]
	s_barrier
	v_add_f64 v[0:1], v[84:85], v[76:77]
	v_add_f64 v[2:3], v[86:87], v[78:79]
	s_and_saveexec_b64 s[20:21], vcc
	s_cbranch_execz .LBB0_15
; %bb.14:
	v_mul_f64 v[76:77], v[146:147], s[38:39]
	v_mul_f64 v[86:87], v[166:167], s[48:49]
	s_mov_b32 s55, 0x3fc7851a
	s_mov_b32 s54, s48
	buffer_store_dword v88, off, s[60:63], 0 offset:40 ; 4-byte Folded Spill
	s_nop 0
	buffer_store_dword v89, off, s[60:63], 0 offset:44 ; 4-byte Folded Spill
	buffer_store_dword v90, off, s[60:63], 0 offset:16 ; 4-byte Folded Spill
	s_nop 0
	buffer_store_dword v91, off, s[60:63], 0 offset:20 ; 4-byte Folded Spill
	;; [unrolled: 3-line block ×4, first 2 shown]
	v_mul_f64 v[84:85], v[140:141], s[4:5]
	v_fma_f64 v[88:89], v[152:153], s[54:55], v[76:77]
	v_mul_f64 v[92:93], v[168:169], s[46:47]
	v_fma_f64 v[94:95], v[126:127], s[38:39], v[86:87]
	buffer_store_dword v96, off, s[60:63], 0 offset:24 ; 4-byte Folded Spill
	s_nop 0
	buffer_store_dword v97, off, s[60:63], 0 offset:28 ; 4-byte Folded Spill
	buffer_store_dword v98, off, s[60:63], 0 offset:48 ; 4-byte Folded Spill
	s_nop 0
	buffer_store_dword v99, off, s[60:63], 0 offset:52 ; 4-byte Folded Spill
	;; [unrolled: 3-line block ×4, first 2 shown]
	buffer_store_dword v104, off, s[60:63], 0 ; 4-byte Folded Spill
	s_nop 0
	buffer_store_dword v105, off, s[60:63], 0 offset:4 ; 4-byte Folded Spill
	v_mul_f64 v[96:97], v[142:143], s[26:27]
	v_fma_f64 v[98:99], v[154:155], s[8:9], v[84:85]
	v_add_f64 v[88:89], v[18:19], v[88:89]
	v_mul_f64 v[102:103], v[170:171], s[30:31]
	v_fma_f64 v[104:105], v[132:133], s[4:5], v[92:93]
	v_add_f64 v[94:95], v[16:17], v[94:95]
	s_mov_b32 s51, 0x3fe58eea
	s_mov_b32 s50, s18
	v_mul_f64 v[100:101], v[162:163], s[6:7]
	v_fma_f64 v[106:107], v[156:157], s[36:37], v[96:97]
	v_add_f64 v[88:89], v[98:99], v[88:89]
	v_mul_f64 v[98:99], v[206:207], s[50:51]
	v_fma_f64 v[243:244], v[136:137], s[26:27], v[102:103]
	v_add_f64 v[94:95], v[104:105], v[94:95]
	v_fma_f64 v[76:77], v[152:153], s[48:49], v[76:77]
	v_mul_f64 v[90:91], v[164:165], s[34:35]
	v_fma_f64 v[245:246], v[186:187], s[18:19], v[100:101]
	v_mul_f64 v[247:248], v[204:205], s[42:43]
	v_add_f64 v[88:89], v[106:107], v[88:89]
	v_fma_f64 v[249:250], v[160:161], s[6:7], v[98:99]
	v_fma_f64 v[86:87], v[126:127], s[38:39], -v[86:87]
	v_add_f64 v[94:95], v[243:244], v[94:95]
	v_fma_f64 v[84:85], v[154:155], s[46:47], v[84:85]
	v_add_f64 v[76:77], v[18:19], v[76:77]
	s_mov_b32 s59, 0x3fe9895b
	s_mov_b32 s58, s42
	v_mul_f64 v[78:79], v[200:201], s[16:17]
	v_mul_f64 v[106:107], v[236:237], s[56:57]
	v_fma_f64 v[243:244], v[198:199], s[58:59], v[90:91]
	v_add_f64 v[88:89], v[245:246], v[88:89]
	v_fma_f64 v[251:252], v[144:145], s[34:35], v[247:248]
	v_add_f64 v[94:95], v[249:250], v[94:95]
	v_fma_f64 v[92:93], v[132:133], s[4:5], -v[92:93]
	v_add_f64 v[86:87], v[16:17], v[86:87]
	v_fma_f64 v[96:97], v[156:157], s[30:31], v[96:97]
	v_add_f64 v[76:77], v[84:85], v[76:77]
	v_mul_f64 v[82:83], v[228:229], s[28:29]
	v_mul_f64 v[104:105], v[240:241], s[40:41]
	v_fma_f64 v[245:246], v[216:217], s[24:25], v[78:79]
	v_add_f64 v[88:89], v[243:244], v[88:89]
	v_fma_f64 v[84:85], v[158:159], s[16:17], v[106:107]
	v_add_f64 v[94:95], v[251:252], v[94:95]
	v_fma_f64 v[102:103], v[136:137], s[26:27], -v[102:103]
	v_add_f64 v[86:87], v[92:93], v[86:87]
	v_fma_f64 v[100:101], v[186:187], s[50:51], v[100:101]
	v_add_f64 v[76:77], v[96:97], v[76:77]
	s_mov_b32 s53, 0x3fefdd0d
	s_mov_b32 s52, s22
	v_mul_f64 v[80:81], v[234:235], s[14:15]
	v_fma_f64 v[243:244], v[238:239], s[44:45], v[82:83]
	v_add_f64 v[88:89], v[245:246], v[88:89]
	v_mul_f64 v[92:93], v[230:231], s[52:53]
	v_fma_f64 v[96:97], v[194:195], s[28:29], v[104:105]
	v_add_f64 v[84:85], v[84:85], v[94:95]
	v_fma_f64 v[94:95], v[160:161], s[6:7], -v[98:99]
	v_add_f64 v[86:87], v[102:103], v[86:87]
	v_fma_f64 v[90:91], v[198:199], s[42:43], v[90:91]
	v_add_f64 v[76:77], v[100:101], v[76:77]
	v_fma_f64 v[98:99], v[208:209], s[22:23], v[80:81]
	;; [unrolled: 2-line block ×3, first 2 shown]
	v_add_f64 v[84:85], v[96:97], v[84:85]
	v_fma_f64 v[96:97], v[144:145], s[34:35], -v[247:248]
	v_add_f64 v[86:87], v[94:95], v[86:87]
	v_fma_f64 v[94:95], v[216:217], s[56:57], v[78:79]
	v_mul_f64 v[102:103], v[146:147], s[26:27]
	v_add_f64 v[90:91], v[90:91], v[76:77]
	v_add_f64 v[78:79], v[98:99], v[88:89]
	v_fma_f64 v[82:83], v[238:239], s[40:41], v[82:83]
	v_add_f64 v[76:77], v[100:101], v[84:85]
	v_fma_f64 v[84:85], v[158:159], s[16:17], -v[106:107]
	v_add_f64 v[86:87], v[96:97], v[86:87]
	v_mul_f64 v[88:89], v[140:141], s[16:17]
	v_fma_f64 v[96:97], v[152:153], s[36:37], v[102:103]
	v_add_f64 v[90:91], v[94:95], v[90:91]
	v_mul_f64 v[94:95], v[166:167], s[30:31]
	v_fma_f64 v[98:99], v[194:195], s[28:29], -v[104:105]
	v_fma_f64 v[80:81], v[208:209], s[52:53], v[80:81]
	v_fma_f64 v[92:93], v[210:211], s[14:15], -v[92:93]
	v_add_f64 v[84:85], v[84:85], v[86:87]
	v_mul_f64 v[86:87], v[142:143], s[14:15]
	v_fma_f64 v[100:101], v[154:155], s[24:25], v[88:89]
	v_add_f64 v[96:97], v[18:19], v[96:97]
	v_add_f64 v[82:83], v[82:83], v[90:91]
	v_mul_f64 v[90:91], v[168:169], s[56:57]
	v_fma_f64 v[104:105], v[126:127], s[26:27], v[94:95]
	v_mul_f64 v[247:248], v[200:201], s[38:39]
	v_add_f64 v[84:85], v[98:99], v[84:85]
	v_mul_f64 v[98:99], v[162:163], s[34:35]
	v_fma_f64 v[106:107], v[156:157], s[52:53], v[86:87]
	v_add_f64 v[96:97], v[100:101], v[96:97]
	v_mul_f64 v[100:101], v[170:171], s[22:23]
	v_fma_f64 v[243:244], v[132:133], s[16:17], v[90:91]
	v_add_f64 v[104:105], v[16:17], v[104:105]
	v_add_f64 v[82:83], v[80:81], v[82:83]
	;; [unrolled: 1-line block ×3, first 2 shown]
	v_mul_f64 v[84:85], v[164:165], s[4:5]
	v_fma_f64 v[92:93], v[186:187], s[42:43], v[98:99]
	v_add_f64 v[96:97], v[106:107], v[96:97]
	v_mul_f64 v[106:107], v[206:207], s[58:59]
	v_fma_f64 v[245:246], v[136:137], s[14:15], v[100:101]
	v_add_f64 v[104:105], v[243:244], v[104:105]
	v_fma_f64 v[102:103], v[152:153], s[30:31], v[102:103]
	v_fma_f64 v[88:89], v[154:155], s[56:57], v[88:89]
	;; [unrolled: 1-line block ×4, first 2 shown]
	v_add_f64 v[92:93], v[92:93], v[96:97]
	v_fma_f64 v[251:252], v[160:161], s[34:35], v[106:107]
	v_mul_f64 v[96:97], v[228:229], s[6:7]
	v_add_f64 v[104:105], v[245:246], v[104:105]
	v_mul_f64 v[245:246], v[204:205], s[8:9]
	v_add_f64 v[102:103], v[18:19], v[102:103]
	v_fma_f64 v[94:95], v[126:127], s[26:27], -v[94:95]
	v_fma_f64 v[86:87], v[156:157], s[22:23], v[86:87]
	v_add_f64 v[92:93], v[249:250], v[92:93]
	v_fma_f64 v[90:91], v[132:133], s[16:17], -v[90:91]
	v_mul_f64 v[249:250], v[236:237], s[48:49]
	v_add_f64 v[104:105], v[251:252], v[104:105]
	v_fma_f64 v[251:252], v[144:145], s[4:5], v[245:246]
	v_add_f64 v[88:89], v[88:89], v[102:103]
	v_fma_f64 v[102:103], v[238:239], s[18:19], v[96:97]
	v_add_f64 v[94:95], v[16:17], v[94:95]
	v_add_f64 v[92:93], v[253:254], v[92:93]
	v_fma_f64 v[98:99], v[186:187], s[58:59], v[98:99]
	v_fma_f64 v[100:101], v[136:137], s[14:15], -v[100:101]
	v_fma_f64 v[253:254], v[158:159], s[38:39], v[249:250]
	v_add_f64 v[104:105], v[251:252], v[104:105]
	v_mul_f64 v[251:252], v[146:147], s[34:35]
	v_add_f64 v[86:87], v[86:87], v[88:89]
	v_add_f64 v[90:91], v[90:91], v[94:95]
	;; [unrolled: 1-line block ×3, first 2 shown]
	v_mul_f64 v[102:103], v[140:141], s[28:29]
	v_mul_f64 v[88:89], v[240:241], s[50:51]
	;; [unrolled: 1-line block ×3, first 2 shown]
	v_add_f64 v[104:105], v[253:254], v[104:105]
	v_fma_f64 v[94:95], v[152:153], s[58:59], v[251:252]
	v_add_f64 v[86:87], v[98:99], v[86:87]
	v_fma_f64 v[98:99], v[160:161], s[34:35], -v[106:107]
	v_add_f64 v[90:91], v[100:101], v[90:91]
	v_mul_f64 v[100:101], v[142:143], s[4:5]
	v_fma_f64 v[106:107], v[154:155], s[40:41], v[102:103]
	v_fma_f64 v[253:254], v[194:195], s[6:7], v[88:89]
	;; [unrolled: 1-line block ×3, first 2 shown]
	v_add_f64 v[94:95], v[18:19], v[94:95]
	v_fma_f64 v[245:246], v[144:145], s[4:5], -v[245:246]
	v_mul_f64 v[114:115], v[230:231], s[40:41]
	v_add_f64 v[90:91], v[98:99], v[90:91]
	v_fma_f64 v[98:99], v[156:157], s[46:47], v[100:101]
	v_fma_f64 v[247:248], v[216:217], s[48:49], v[247:248]
	v_add_f64 v[104:105], v[253:254], v[104:105]
	v_fma_f64 v[253:254], v[208:209], s[44:45], v[243:244]
	v_add_f64 v[94:95], v[106:107], v[94:95]
	v_mul_f64 v[106:107], v[162:163], s[26:27]
	v_add_f64 v[84:85], v[84:85], v[86:87]
	v_fma_f64 v[249:250], v[158:159], s[38:39], -v[249:250]
	v_add_f64 v[90:91], v[245:246], v[90:91]
	v_mul_f64 v[245:246], v[164:165], s[14:15]
	v_fma_f64 v[88:89], v[194:195], s[6:7], -v[88:89]
	v_add_f64 v[86:87], v[253:254], v[92:93]
	v_add_f64 v[94:95], v[98:99], v[94:95]
	v_fma_f64 v[98:99], v[186:187], s[36:37], v[106:107]
	v_fma_f64 v[92:93], v[238:239], s[50:51], v[96:97]
	v_add_f64 v[84:85], v[247:248], v[84:85]
	v_fma_f64 v[96:97], v[210:211], s[28:29], v[114:115]
	v_add_f64 v[90:91], v[249:250], v[90:91]
	v_fma_f64 v[247:248], v[198:199], s[22:23], v[245:246]
	v_mul_f64 v[249:250], v[166:167], s[42:43]
	v_fma_f64 v[243:244], v[208:209], s[40:41], v[243:244]
	v_add_f64 v[94:95], v[98:99], v[94:95]
	v_mul_f64 v[98:99], v[200:201], s[6:7]
	v_add_f64 v[92:93], v[92:93], v[84:85]
	v_fma_f64 v[114:115], v[210:211], s[28:29], -v[114:115]
	v_add_f64 v[88:89], v[88:89], v[90:91]
	v_mul_f64 v[253:254], v[228:229], s[38:39]
	v_add_f64 v[84:85], v[96:97], v[104:105]
	v_mul_f64 v[96:97], v[168:169], s[44:45]
	v_add_f64 v[94:95], v[247:248], v[94:95]
	v_fma_f64 v[247:248], v[216:217], s[50:51], v[98:99]
	v_fma_f64 v[104:105], v[126:127], s[34:35], v[249:250]
	v_add_f64 v[90:91], v[243:244], v[92:93]
	v_add_f64 v[88:89], v[114:115], v[88:89]
	v_fma_f64 v[92:93], v[238:239], s[54:55], v[253:254]
	v_mul_f64 v[114:115], v[170:171], s[8:9]
	v_fma_f64 v[243:244], v[132:133], s[28:29], v[96:97]
	v_mul_f64 v[120:121], v[234:235], s[16:17]
	v_add_f64 v[94:95], v[247:248], v[94:95]
	v_add_f64 v[104:105], v[16:17], v[104:105]
	v_mul_f64 v[122:123], v[230:231], s[56:57]
	v_fma_f64 v[102:103], v[154:155], s[44:45], v[102:103]
	v_fma_f64 v[100:101], v[156:157], s[8:9], v[100:101]
	v_fma_f64 v[96:97], v[132:133], s[28:29], -v[96:97]
	v_fma_f64 v[98:99], v[216:217], s[18:19], v[98:99]
	v_add_f64 v[56:57], v[16:17], v[56:57]
	v_add_f64 v[92:93], v[92:93], v[94:95]
	v_fma_f64 v[94:95], v[136:137], s[4:5], v[114:115]
	v_add_f64 v[104:105], v[243:244], v[104:105]
	v_mul_f64 v[243:244], v[206:207], s[30:31]
	v_add_f64 v[58:59], v[18:19], v[58:59]
	v_mul_f64 v[130:131], v[234:235], s[6:7]
	v_mul_f64 v[134:135], v[230:231], s[50:51]
	v_add_f64 v[56:57], v[56:57], v[72:73]
	v_mul_f64 v[72:73], v[164:165], s[16:17]
	v_add_f64 v[94:95], v[94:95], v[104:105]
	v_fma_f64 v[104:105], v[160:161], s[26:27], v[243:244]
	v_add_f64 v[58:59], v[58:59], v[74:75]
	v_mul_f64 v[74:75], v[200:201], s[26:27]
	v_add_f64 v[64:65], v[56:57], v[64:65]
	v_add_f64 v[94:95], v[104:105], v[94:95]
	v_mul_f64 v[104:105], v[204:205], s[52:53]
	v_add_f64 v[66:67], v[58:59], v[66:67]
	v_fma_f64 v[56:57], v[216:217], s[36:37], v[74:75]
	v_add_f64 v[64:65], v[64:65], v[68:69]
	v_fma_f64 v[247:248], v[144:145], s[14:15], v[104:105]
	v_fma_f64 v[104:105], v[144:145], s[14:15], -v[104:105]
	v_add_f64 v[66:67], v[66:67], v[70:71]
	v_add_f64 v[60:61], v[64:65], v[60:61]
	;; [unrolled: 1-line block ×3, first 2 shown]
	v_mul_f64 v[247:248], v[236:237], s[18:19]
	v_add_f64 v[66:67], v[66:67], v[62:63]
	v_mul_f64 v[62:63], v[142:143], s[38:39]
	v_add_f64 v[36:37], v[60:61], v[36:37]
	v_fma_f64 v[116:117], v[158:159], s[6:7], v[247:248]
	v_add_f64 v[38:39], v[66:67], v[38:39]
	v_add_f64 v[36:37], v[36:37], v[44:45]
	;; [unrolled: 1-line block ×3, first 2 shown]
	v_mul_f64 v[116:117], v[240:241], s[48:49]
	v_add_f64 v[38:39], v[38:39], v[46:47]
	v_add_f64 v[36:37], v[36:37], v[52:53]
	v_fma_f64 v[118:119], v[194:195], s[38:39], v[116:117]
	v_fma_f64 v[116:117], v[194:195], s[38:39], -v[116:117]
	v_add_f64 v[38:39], v[38:39], v[54:55]
	v_add_f64 v[36:37], v[36:37], v[48:49]
	;; [unrolled: 1-line block ×3, first 2 shown]
	v_fma_f64 v[94:95], v[208:209], s[24:25], v[120:121]
	v_fma_f64 v[120:121], v[208:209], s[56:57], v[120:121]
	v_add_f64 v[36:37], v[36:37], v[40:41]
	v_add_f64 v[38:39], v[38:39], v[50:51]
	;; [unrolled: 1-line block ×3, first 2 shown]
	v_fma_f64 v[92:93], v[210:211], s[16:17], v[122:123]
	v_fma_f64 v[122:123], v[210:211], s[16:17], -v[122:123]
	v_add_f64 v[38:39], v[38:39], v[42:43]
	v_add_f64 v[32:33], v[36:37], v[32:33]
	;; [unrolled: 1-line block ×3, first 2 shown]
	v_fma_f64 v[118:119], v[152:153], s[42:43], v[251:252]
	v_add_f64 v[34:35], v[38:39], v[34:35]
	v_add_f64 v[28:29], v[32:33], v[28:29]
	;; [unrolled: 1-line block ×9, first 2 shown]
	v_fma_f64 v[102:103], v[186:187], s[30:31], v[106:107]
	v_fma_f64 v[106:107], v[136:137], s[4:5], -v[114:115]
	v_fma_f64 v[114:115], v[238:239], s[48:49], v[253:254]
	v_add_f64 v[22:23], v[26:27], v[22:23]
	v_add_f64 v[100:101], v[102:103], v[100:101]
	v_fma_f64 v[102:103], v[198:199], s[52:53], v[245:246]
	v_mul_f64 v[245:246], v[168:169], s[36:37]
	v_add_f64 v[14:15], v[22:23], v[14:15]
	v_add_f64 v[22:23], v[20:21], v[12:13]
	;; [unrolled: 1-line block ×3, first 2 shown]
	v_fma_f64 v[102:103], v[126:127], s[34:35], -v[249:250]
	v_add_f64 v[22:23], v[22:23], v[8:9]
	v_lshl_add_u32 v8, v110, 8, v242
	v_add_f64 v[98:99], v[98:99], v[100:101]
	v_add_f64 v[102:103], v[16:17], v[102:103]
	v_fma_f64 v[100:101], v[160:161], s[26:27], -v[243:244]
	v_fma_f64 v[243:244], v[158:159], s[6:7], -v[247:248]
	v_fma_f64 v[247:248], v[132:133], s[26:27], v[245:246]
	v_add_f64 v[98:99], v[114:115], v[98:99]
	v_add_f64 v[96:97], v[96:97], v[102:103]
	v_mul_f64 v[102:103], v[146:147], s[28:29]
	v_add_f64 v[98:99], v[120:121], v[98:99]
	v_add_f64 v[96:97], v[106:107], v[96:97]
	v_mul_f64 v[106:107], v[140:141], s[26:27]
	v_fma_f64 v[118:119], v[152:153], s[44:45], v[102:103]
	v_mul_f64 v[120:121], v[228:229], s[4:5]
	v_fma_f64 v[102:103], v[152:153], s[40:41], v[102:103]
	v_add_f64 v[96:97], v[100:101], v[96:97]
	v_fma_f64 v[100:101], v[154:155], s[30:31], v[106:107]
	v_add_f64 v[114:115], v[18:19], v[118:119]
	v_mul_f64 v[118:119], v[142:143], s[6:7]
	v_fma_f64 v[106:107], v[154:155], s[36:37], v[106:107]
	v_add_f64 v[102:103], v[18:19], v[102:103]
	v_add_f64 v[96:97], v[104:105], v[96:97]
	v_mul_f64 v[104:105], v[162:163], s[16:17]
	v_add_f64 v[100:101], v[100:101], v[114:115]
	v_fma_f64 v[114:115], v[156:157], s[18:19], v[118:119]
	v_add_f64 v[102:103], v[106:107], v[102:103]
	v_fma_f64 v[106:107], v[156:157], s[50:51], v[118:119]
	;; [unrolled: 2-line block ×3, first 2 shown]
	v_fma_f64 v[104:105], v[186:187], s[24:25], v[104:105]
	v_add_f64 v[100:101], v[114:115], v[100:101]
	v_mul_f64 v[114:115], v[164:165], s[38:39]
	v_add_f64 v[102:103], v[106:107], v[102:103]
	v_fma_f64 v[106:107], v[132:133], s[26:27], -v[245:246]
	v_add_f64 v[96:97], v[116:117], v[96:97]
	v_mul_f64 v[116:117], v[200:201], s[14:15]
	v_mul_f64 v[245:246], v[146:147], s[14:15]
	v_add_f64 v[100:101], v[243:244], v[100:101]
	v_fma_f64 v[243:244], v[198:199], s[54:55], v[114:115]
	v_fma_f64 v[114:115], v[198:199], s[48:49], v[114:115]
	v_add_f64 v[102:103], v[104:105], v[102:103]
	v_add_f64 v[96:97], v[122:123], v[96:97]
	v_fma_f64 v[122:123], v[216:217], s[22:23], v[116:117]
	v_fma_f64 v[116:117], v[216:217], s[52:53], v[116:117]
	;; [unrolled: 1-line block ×3, first 2 shown]
	v_add_f64 v[100:101], v[243:244], v[100:101]
	v_fma_f64 v[243:244], v[238:239], s[46:47], v[120:121]
	v_add_f64 v[102:103], v[114:115], v[102:103]
	v_fma_f64 v[120:121], v[238:239], s[8:9], v[120:121]
	v_add_f64 v[68:69], v[18:19], v[68:69]
	v_add_f64 v[100:101], v[122:123], v[100:101]
	v_mul_f64 v[122:123], v[166:167], s[40:41]
	v_add_f64 v[102:103], v[116:117], v[102:103]
	v_mul_f64 v[116:117], v[234:235], s[34:35]
	v_add_f64 v[100:101], v[243:244], v[100:101]
	v_fma_f64 v[243:244], v[126:127], s[28:29], v[122:123]
	v_fma_f64 v[104:105], v[126:127], s[28:29], -v[122:123]
	v_add_f64 v[120:121], v[120:121], v[102:103]
	v_add_f64 v[243:244], v[16:17], v[243:244]
	;; [unrolled: 1-line block ×4, first 2 shown]
	v_mul_f64 v[247:248], v[170:171], s[50:51]
	v_add_f64 v[104:105], v[106:107], v[104:105]
	v_fma_f64 v[249:250], v[136:137], s[6:7], v[247:248]
	v_fma_f64 v[106:107], v[136:137], s[6:7], -v[247:248]
	v_add_f64 v[243:244], v[249:250], v[243:244]
	v_mul_f64 v[249:250], v[206:207], s[24:25]
	v_add_f64 v[104:105], v[106:107], v[104:105]
	v_mul_f64 v[106:107], v[236:237], s[52:53]
	v_fma_f64 v[251:252], v[160:161], s[16:17], v[249:250]
	v_fma_f64 v[118:119], v[160:161], s[16:17], -v[249:250]
	v_fma_f64 v[114:115], v[158:159], s[14:15], v[106:107]
	v_fma_f64 v[106:107], v[158:159], s[14:15], -v[106:107]
	v_add_f64 v[243:244], v[251:252], v[243:244]
	v_mul_f64 v[251:252], v[204:205], s[48:49]
	v_add_f64 v[104:105], v[118:119], v[104:105]
	v_mul_f64 v[118:119], v[240:241], s[8:9]
	v_fma_f64 v[253:254], v[144:145], s[38:39], v[251:252]
	v_fma_f64 v[122:123], v[144:145], s[38:39], -v[251:252]
	v_add_f64 v[243:244], v[253:254], v[243:244]
	v_add_f64 v[104:105], v[122:123], v[104:105]
	v_mul_f64 v[122:123], v[230:231], s[42:43]
	v_mul_f64 v[230:231], v[230:231], s[30:31]
	v_add_f64 v[114:115], v[114:115], v[243:244]
	v_fma_f64 v[243:244], v[194:195], s[4:5], v[118:119]
	v_fma_f64 v[118:119], v[194:195], s[4:5], -v[118:119]
	v_add_f64 v[104:105], v[106:107], v[104:105]
	v_fma_f64 v[106:107], v[210:211], s[34:35], v[122:123]
	v_fma_f64 v[122:123], v[210:211], s[34:35], -v[122:123]
	v_fma_f64 v[44:45], v[210:211], s[26:27], -v[230:231]
	v_add_f64 v[114:115], v[243:244], v[114:115]
	v_fma_f64 v[243:244], v[208:209], s[58:59], v[116:117]
	v_fma_f64 v[116:117], v[208:209], s[42:43], v[116:117]
	v_add_f64 v[104:105], v[118:119], v[104:105]
	v_fma_f64 v[118:119], v[152:153], s[52:53], v[245:246]
	v_add_f64 v[102:103], v[243:244], v[100:101]
	v_add_f64 v[100:101], v[106:107], v[114:115]
	v_mul_f64 v[114:115], v[140:141], s[38:39]
	v_add_f64 v[106:107], v[116:117], v[120:121]
	v_mul_f64 v[116:117], v[142:143], s[28:29]
	v_add_f64 v[118:119], v[18:19], v[118:119]
	v_add_f64 v[104:105], v[122:123], v[104:105]
	v_mul_f64 v[243:244], v[228:229], s[34:35]
	v_fma_f64 v[120:121], v[154:155], s[54:55], v[114:115]
	v_fma_f64 v[70:71], v[154:155], s[48:49], v[114:115]
	;; [unrolled: 1-line block ×3, first 2 shown]
	v_add_f64 v[118:119], v[120:121], v[118:119]
	v_mul_f64 v[120:121], v[162:163], s[4:5]
	v_add_f64 v[68:69], v[70:71], v[68:69]
	v_fma_f64 v[70:71], v[156:157], s[44:45], v[116:117]
	v_add_f64 v[118:119], v[122:123], v[118:119]
	v_fma_f64 v[122:123], v[186:187], s[8:9], v[120:121]
	;; [unrolled: 2-line block ×6, first 2 shown]
	v_mul_f64 v[122:123], v[166:167], s[22:23]
	v_add_f64 v[68:69], v[70:71], v[68:69]
	v_fma_f64 v[70:71], v[216:217], s[30:31], v[74:75]
	v_fma_f64 v[74:75], v[238:239], s[58:59], v[243:244]
	v_add_f64 v[56:57], v[56:57], v[58:59]
	v_fma_f64 v[58:59], v[126:127], s[14:15], v[122:123]
	v_add_f64 v[68:69], v[70:71], v[68:69]
	v_fma_f64 v[70:71], v[126:127], s[14:15], -v[122:123]
	v_add_f64 v[56:57], v[118:119], v[56:57]
	v_mul_f64 v[118:119], v[168:169], s[48:49]
	v_add_f64 v[58:59], v[16:17], v[58:59]
	v_add_f64 v[68:69], v[74:75], v[68:69]
	;; [unrolled: 1-line block ×3, first 2 shown]
	v_mul_f64 v[74:75], v[140:141], s[34:35]
	v_fma_f64 v[247:248], v[132:133], s[38:39], v[118:119]
	v_fma_f64 v[72:73], v[132:133], s[38:39], -v[118:119]
	v_mul_f64 v[118:119], v[166:167], s[24:25]
	v_mul_f64 v[166:167], v[206:207], s[44:45]
	v_fma_f64 v[64:65], v[154:155], s[58:59], v[74:75]
	v_fma_f64 v[74:75], v[154:155], s[42:43], v[74:75]
	v_mul_f64 v[154:155], v[164:165], s[6:7]
	v_add_f64 v[58:59], v[247:248], v[58:59]
	v_mul_f64 v[247:248], v[170:171], s[44:45]
	v_add_f64 v[70:71], v[72:73], v[70:71]
	v_fma_f64 v[122:123], v[126:127], s[16:17], v[118:119]
	v_fma_f64 v[118:119], v[126:127], s[16:17], -v[118:119]
	v_fma_f64 v[249:250], v[136:137], s[28:29], v[247:248]
	v_fma_f64 v[72:73], v[136:137], s[28:29], -v[247:248]
	v_add_f64 v[122:123], v[16:17], v[122:123]
	v_add_f64 v[118:119], v[16:17], v[118:119]
	;; [unrolled: 1-line block ×3, first 2 shown]
	v_mul_f64 v[249:250], v[206:207], s[46:47]
	v_add_f64 v[70:71], v[72:73], v[70:71]
	v_mul_f64 v[72:73], v[146:147], s[16:17]
	v_mul_f64 v[206:207], v[132:133], s[14:15]
	v_fma_f64 v[251:252], v[160:161], s[4:5], v[249:250]
	v_fma_f64 v[114:115], v[160:161], s[4:5], -v[249:250]
	v_add_f64 v[58:59], v[251:252], v[58:59]
	v_mul_f64 v[251:252], v[204:205], s[24:25]
	v_add_f64 v[70:71], v[114:115], v[70:71]
	v_fma_f64 v[114:115], v[152:153], s[56:57], v[72:73]
	v_fma_f64 v[72:73], v[152:153], s[24:25], v[72:73]
	;; [unrolled: 1-line block ×3, first 2 shown]
	v_fma_f64 v[116:117], v[144:145], s[16:17], -v[251:252]
	v_add_f64 v[114:115], v[18:19], v[114:115]
	v_add_f64 v[72:73], v[18:19], v[72:73]
	;; [unrolled: 1-line block ×3, first 2 shown]
	v_mul_f64 v[253:254], v[236:237], s[30:31]
	v_add_f64 v[70:71], v[116:117], v[70:71]
	v_fma_f64 v[116:117], v[156:157], s[48:49], v[62:63]
	v_add_f64 v[64:65], v[64:65], v[114:115]
	v_fma_f64 v[62:63], v[156:157], s[54:55], v[62:63]
	v_add_f64 v[72:73], v[74:75], v[72:73]
	v_mul_f64 v[156:157], v[200:201], s[4:5]
	v_fma_f64 v[74:75], v[198:199], s[18:19], v[154:155]
	v_fma_f64 v[120:121], v[158:159], s[26:27], -v[253:254]
	v_fma_f64 v[124:125], v[158:159], s[26:27], v[253:254]
	v_fma_f64 v[154:155], v[198:199], s[50:51], v[154:155]
	v_add_f64 v[64:65], v[116:117], v[64:65]
	v_mul_f64 v[114:115], v[168:169], s[42:43]
	v_add_f64 v[62:63], v[62:63], v[72:73]
	v_mul_f64 v[168:169], v[146:147], s[4:5]
	v_mul_f64 v[146:147], v[146:147], s[6:7]
	v_add_f64 v[70:71], v[120:121], v[70:71]
	v_mul_f64 v[120:121], v[162:163], s[28:29]
	v_add_f64 v[58:59], v[124:125], v[58:59]
	v_mul_f64 v[124:125], v[240:241], s[58:59]
	v_mul_f64 v[72:73], v[228:229], s[14:15]
	v_fma_f64 v[116:117], v[132:133], s[34:35], v[114:115]
	v_fma_f64 v[114:115], v[132:133], s[34:35], -v[114:115]
	v_mul_f64 v[198:199], v[132:133], s[6:7]
	v_mul_f64 v[132:133], v[158:159], s[34:35]
	v_fma_f64 v[152:153], v[186:187], s[40:41], v[120:121]
	v_fma_f64 v[120:121], v[186:187], s[44:45], v[120:121]
	;; [unrolled: 1-line block ×3, first 2 shown]
	v_fma_f64 v[124:125], v[194:195], s[34:35], -v[124:125]
	v_add_f64 v[116:117], v[116:117], v[122:123]
	v_mul_f64 v[186:187], v[126:127], s[6:7]
	v_add_f64 v[114:115], v[114:115], v[118:119]
	v_mul_f64 v[118:119], v[228:229], s[26:27]
	v_add_f64 v[64:65], v[152:153], v[64:65]
	v_add_f64 v[62:63], v[120:121], v[62:63]
	;; [unrolled: 1-line block ×3, first 2 shown]
	v_fma_f64 v[58:59], v[208:209], s[18:19], v[130:131]
	v_mul_f64 v[120:121], v[140:141], s[6:7]
	v_mul_f64 v[140:141], v[140:141], s[14:15]
	v_add_f64 v[70:71], v[124:125], v[70:71]
	v_mul_f64 v[124:125], v[126:127], s[4:5]
	v_add_f64 v[64:65], v[74:75], v[64:65]
	v_fma_f64 v[74:75], v[216:217], s[46:47], v[156:157]
	v_fma_f64 v[156:157], v[216:217], s[8:9], v[156:157]
	v_add_f64 v[62:63], v[154:155], v[62:63]
	v_add_f64 v[58:59], v[58:59], v[56:57]
	v_fma_f64 v[56:57], v[210:211], s[6:7], v[134:135]
	v_add_f64 v[140:141], v[226:227], v[140:141]
	v_mul_f64 v[126:127], v[164:165], s[28:29]
	v_mul_f64 v[164:165], v[164:165], s[26:27]
	v_add_f64 v[64:65], v[74:75], v[64:65]
	v_fma_f64 v[74:75], v[238:239], s[52:53], v[72:73]
	v_add_f64 v[156:157], v[156:157], v[62:63]
	v_add_f64 v[62:63], v[232:233], v[146:147]
	;; [unrolled: 1-line block ×3, first 2 shown]
	v_mul_f64 v[128:129], v[170:171], s[54:55]
	v_mul_f64 v[170:171], v[236:237], s[8:9]
	;; [unrolled: 1-line block ×4, first 2 shown]
	v_add_f64 v[64:65], v[74:75], v[64:65]
	v_mul_f64 v[74:75], v[142:143], s[16:17]
	v_mul_f64 v[142:143], v[142:143], s[34:35]
	v_add_f64 v[62:63], v[18:19], v[62:63]
	v_fma_f64 v[122:123], v[136:137], s[38:39], v[128:129]
	v_fma_f64 v[128:129], v[136:137], s[38:39], -v[128:129]
	v_fma_f64 v[152:153], v[160:161], s[28:29], v[166:167]
	v_add_f64 v[162:163], v[222:223], v[162:163]
	v_mul_f64 v[216:217], v[160:161], s[14:15]
	v_mul_f64 v[146:147], v[160:161], s[38:39]
	v_add_f64 v[142:143], v[224:225], v[142:143]
	v_add_f64 v[62:63], v[140:141], v[62:63]
	;; [unrolled: 1-line block ×3, first 2 shown]
	v_mul_f64 v[122:123], v[204:205], s[50:51]
	v_fma_f64 v[160:161], v[160:161], s[28:29], -v[166:167]
	v_mul_f64 v[224:225], v[200:201], s[34:35]
	v_mul_f64 v[200:201], v[200:201], s[28:29]
	v_add_f64 v[114:115], v[128:129], v[114:115]
	v_add_f64 v[164:165], v[220:221], v[164:165]
	;; [unrolled: 1-line block ×4, first 2 shown]
	v_fma_f64 v[152:153], v[144:145], s[6:7], v[122:123]
	v_mul_f64 v[166:167], v[144:145], s[28:29]
	v_mul_f64 v[226:227], v[144:145], s[26:27]
	;; [unrolled: 1-line block ×3, first 2 shown]
	v_fma_f64 v[122:123], v[144:145], s[6:7], -v[122:123]
	v_add_f64 v[114:115], v[160:161], v[114:115]
	v_add_f64 v[162:163], v[162:163], v[62:63]
	;; [unrolled: 1-line block ×3, first 2 shown]
	v_fma_f64 v[72:73], v[238:239], s[22:23], v[72:73]
	v_add_f64 v[54:55], v[186:187], -v[174:175]
	v_add_f64 v[116:117], v[152:153], v[116:117]
	v_fma_f64 v[152:153], v[158:159], s[4:5], v[170:171]
	v_mul_f64 v[204:205], v[240:241], s[22:23]
	v_add_f64 v[114:115], v[122:123], v[114:115]
	v_add_f64 v[160:161], v[164:165], v[162:163]
	;; [unrolled: 1-line block ×4, first 2 shown]
	buffer_load_dword v156, off, s[60:63], 0 offset:64 ; 4-byte Folded Reload
	buffer_load_dword v157, off, s[60:63], 0 offset:68 ; 4-byte Folded Reload
	;; [unrolled: 1-line block ×4, first 2 shown]
	v_add_f64 v[116:117], v[152:153], v[116:117]
	v_fma_f64 v[152:153], v[194:195], s[14:15], v[204:205]
	v_mul_f64 v[154:155], v[136:137], s[16:17]
	v_add_f64 v[144:145], v[144:145], v[160:161]
	v_add_f64 v[42:43], v[146:147], -v[182:183]
	v_mul_f64 v[140:141], v[158:159], s[28:29]
	v_add_f64 v[38:39], v[226:227], -v[184:185]
	v_mul_f64 v[222:223], v[194:195], s[16:17]
	v_fma_f64 v[66:67], v[158:159], s[4:5], -v[170:171]
	v_add_f64 v[116:117], v[152:153], v[116:117]
	v_mul_f64 v[152:153], v[136:137], s[34:35]
	v_add_f64 v[122:123], v[122:123], v[144:145]
	buffer_load_dword v144, off, s[60:63], 0 offset:56 ; 4-byte Folded Reload
	buffer_load_dword v145, off, s[60:63], 0 offset:60 ; 4-byte Folded Reload
	v_mul_f64 v[136:137], v[194:195], s[26:27]
	v_add_f64 v[34:35], v[140:141], -v[188:189]
	v_mul_f64 v[142:143], v[210:211], s[38:39]
	v_mul_f64 v[128:129], v[234:235], s[38:39]
	;; [unrolled: 1-line block ×3, first 2 shown]
	v_add_f64 v[50:51], v[152:153], -v[180:181]
	v_mul_f64 v[232:233], v[210:211], s[4:5]
	v_mul_f64 v[234:235], v[234:235], s[4:5]
	v_add_f64 v[30:31], v[222:223], -v[196:197]
	v_fma_f64 v[46:47], v[194:195], s[14:15], -v[204:205]
	v_add_f64 v[66:67], v[66:67], v[114:115]
	v_fma_f64 v[130:131], v[208:209], s[50:51], v[130:131]
	v_fma_f64 v[60:61], v[208:209], s[30:31], v[220:221]
	v_add_f64 v[26:27], v[232:233], -v[202:203]
	v_add_f64 v[114:115], v[218:219], v[234:235]
	v_add_f64 v[62:63], v[130:131], v[68:69]
	v_fma_f64 v[68:69], v[210:211], s[6:7], -v[134:135]
	v_fma_f64 v[130:131], v[208:209], s[36:37], v[220:221]
	v_fma_f64 v[134:135], v[210:211], s[26:27], v[230:231]
	v_add_f64 v[12:13], v[60:61], v[72:73]
	v_add_f64 v[60:61], v[68:69], v[70:71]
	s_waitcnt vmcnt(4)
	v_add_f64 v[156:157], v[156:157], v[168:169]
	s_waitcnt vmcnt(2)
	v_add_f64 v[52:53], v[124:125], -v[52:53]
	v_add_f64 v[124:125], v[206:207], -v[176:177]
	v_add_f64 v[18:19], v[18:19], v[156:157]
	v_add_f64 v[48:49], v[16:17], v[52:53]
	;; [unrolled: 1-line block ×3, first 2 shown]
	s_waitcnt vmcnt(0)
	v_add_f64 v[120:121], v[144:145], v[120:121]
	buffer_load_dword v144, off, s[60:63], 0 offset:16 ; 4-byte Folded Reload
	buffer_load_dword v145, off, s[60:63], 0 offset:20 ; 4-byte Folded Reload
	;; [unrolled: 1-line block ×6, first 2 shown]
	v_add_f64 v[16:17], v[124:125], v[16:17]
	v_add_f64 v[18:19], v[120:121], v[18:19]
	;; [unrolled: 1-line block ×8, first 2 shown]
	s_waitcnt vmcnt(4)
	v_add_f64 v[144:145], v[198:199], -v[144:145]
	s_waitcnt vmcnt(2)
	v_add_f64 v[52:53], v[52:53], v[74:75]
	s_waitcnt vmcnt(0)
	v_add_f64 v[54:55], v[154:155], -v[54:55]
	v_add_f64 v[40:41], v[144:145], v[48:49]
	buffer_load_dword v48, off, s[60:63], 0 offset:32 ; 4-byte Folded Reload
	buffer_load_dword v49, off, s[60:63], 0 offset:36 ; 4-byte Folded Reload
	v_add_f64 v[18:19], v[52:53], v[18:19]
	buffer_load_dword v52, off, s[60:63], 0 offset:8 ; 4-byte Folded Reload
	buffer_load_dword v53, off, s[60:63], 0 offset:12 ; 4-byte Folded Reload
	v_add_f64 v[36:37], v[54:55], v[40:41]
	v_add_f64 v[40:41], v[138:139], v[126:127]
	s_waitcnt vmcnt(2)
	v_add_f64 v[48:49], v[48:49], v[236:237]
	s_waitcnt vmcnt(0)
	v_add_f64 v[52:53], v[216:217], -v[52:53]
	v_add_f64 v[18:19], v[48:49], v[18:19]
	buffer_load_dword v48, off, s[60:63], 0 ; 4-byte Folded Reload
	buffer_load_dword v49, off, s[60:63], 0 offset:4 ; 4-byte Folded Reload
	v_add_f64 v[32:33], v[52:53], v[36:37]
	v_add_f64 v[36:37], v[150:151], v[224:225]
	;; [unrolled: 1-line block ×3, first 2 shown]
	v_add_f64 v[40:41], v[132:133], -v[148:149]
	v_add_f64 v[18:19], v[36:37], v[18:19]
	v_add_f64 v[36:37], v[136:137], -v[172:173]
	s_waitcnt vmcnt(0)
	v_add_f64 v[48:49], v[166:167], -v[48:49]
	v_add_f64 v[28:29], v[48:49], v[32:33]
	v_add_f64 v[32:33], v[178:179], v[118:119]
	;; [unrolled: 1-line block ×5, first 2 shown]
	v_add_f64 v[32:33], v[142:143], -v[190:191]
	v_add_f64 v[34:35], v[36:37], v[24:25]
	v_add_f64 v[36:37], v[46:47], v[66:67]
	;; [unrolled: 1-line block ×9, first 2 shown]
	ds_write_b128 v8, v[22:25]
	ds_write_b128 v8, v[18:21] offset:16
	ds_write_b128 v8, v[14:17] offset:32
	;; [unrolled: 1-line block ×16, first 2 shown]
.LBB0_15:
	s_or_b64 exec, exec, s[20:21]
	s_load_dwordx2 s[4:5], s[2:3], 0x0
	s_movk_i32 s2, 0xf1
	v_mul_lo_u16_sdwa v8, v110, s2 dst_sel:DWORD dst_unused:UNUSED_PAD src0_sel:BYTE_0 src1_sel:DWORD
	v_lshrrev_b16_e32 v107, 12, v8
	v_mul_lo_u16_e32 v8, 17, v107
	v_sub_u16_e32 v111, v110, v8
	v_mov_b32_e32 v76, 5
	v_add_u32_e32 v75, 0x66, v110
	v_lshlrev_b32_sdwa v16, v76, v111 dst_sel:DWORD dst_unused:UNUSED_PAD src0_sel:DWORD src1_sel:BYTE_0
	s_waitcnt lgkmcnt(0)
	s_barrier
	global_load_dwordx4 v[8:11], v16, s[12:13] offset:16
	global_load_dwordx4 v[12:15], v16, s[12:13]
	v_mul_lo_u16_sdwa v16, v75, s2 dst_sel:DWORD dst_unused:UNUSED_PAD src0_sel:BYTE_0 src1_sel:DWORD
	v_lshrrev_b16_e32 v138, 12, v16
	v_mul_lo_u16_e32 v16, 17, v138
	v_sub_u16_e32 v139, v75, v16
	v_add_u32_e32 v74, 0xcc, v110
	v_lshlrev_b32_sdwa v24, v76, v139 dst_sel:DWORD dst_unused:UNUSED_PAD src0_sel:DWORD src1_sel:BYTE_0
	s_mov_b32 s2, 0xf0f1
	global_load_dwordx4 v[16:19], v24, s[12:13] offset:16
	global_load_dwordx4 v[20:23], v24, s[12:13]
	v_mul_u32_u24_sdwa v24, v74, s2 dst_sel:DWORD dst_unused:UNUSED_PAD src0_sel:WORD_0 src1_sel:DWORD
	v_lshrrev_b32_e32 v140, 20, v24
	v_mul_lo_u16_e32 v24, 17, v140
	v_sub_u16_e32 v141, v74, v24
	v_add_u32_e32 v32, 0x132, v110
	v_lshlrev_b32_e32 v33, 5, v141
	global_load_dwordx4 v[24:27], v33, s[12:13] offset:16
	global_load_dwordx4 v[28:31], v33, s[12:13]
	v_mul_u32_u24_sdwa v33, v32, s2 dst_sel:DWORD dst_unused:UNUSED_PAD src0_sel:WORD_0 src1_sel:DWORD
	v_lshrrev_b32_e32 v142, 20, v33
	v_mul_lo_u16_e32 v33, 17, v142
	v_sub_u16_e32 v143, v32, v33
	v_lshlrev_b32_e32 v41, 5, v143
	global_load_dwordx4 v[32:35], v41, s[12:13] offset:16
	global_load_dwordx4 v[36:39], v41, s[12:13]
	v_add_u32_e32 v40, 0x198, v110
	v_mul_u32_u24_sdwa v41, v40, s2 dst_sel:DWORD dst_unused:UNUSED_PAD src0_sel:WORD_0 src1_sel:DWORD
	v_lshrrev_b32_e32 v144, 20, v41
	v_mul_lo_u16_e32 v41, 17, v144
	v_sub_u16_e32 v145, v40, v41
	v_lshlrev_b32_e32 v48, 5, v145
	global_load_dwordx4 v[40:43], v48, s[12:13]
	global_load_dwordx4 v[44:47], v48, s[12:13] offset:16
	ds_read_b128 v[48:51], v242
	ds_read_b128 v[52:55], v242 offset:1632
	ds_read_b128 v[56:59], v242 offset:16320
	;; [unrolled: 1-line block ×14, first 2 shown]
	s_mov_b32 s6, 0xe8584caa
	s_mov_b32 s7, 0x3febb67a
	;; [unrolled: 1-line block ×4, first 2 shown]
	s_waitcnt vmcnt(0) lgkmcnt(0)
	s_barrier
	v_cmp_gt_u32_e32 vcc, 51, v110
	v_mul_f64 v[105:106], v[58:59], v[10:11]
	v_mul_f64 v[72:73], v[95:96], v[14:15]
	;; [unrolled: 1-line block ×8, first 2 shown]
	v_fma_f64 v[72:73], v[93:94], v[12:13], -v[72:73]
	v_fma_f64 v[12:13], v[95:96], v[12:13], v[14:15]
	v_fma_f64 v[14:15], v[56:57], v[8:9], -v[105:106]
	v_mul_f64 v[128:129], v[87:88], v[26:27]
	v_mul_f64 v[126:127], v[70:71], v[30:31]
	;; [unrolled: 1-line block ×4, first 2 shown]
	v_fma_f64 v[8:9], v[58:59], v[8:9], v[10:11]
	v_fma_f64 v[10:11], v[64:65], v[20:21], -v[122:123]
	v_mul_f64 v[132:133], v[91:92], v[34:35]
	v_mul_f64 v[34:35], v[89:90], v[34:35]
	v_fma_f64 v[58:59], v[60:61], v[16:17], -v[124:125]
	v_mul_f64 v[130:131], v[103:104], v[38:39]
	v_mul_f64 v[38:39], v[101:102], v[38:39]
	v_fma_f64 v[56:57], v[66:67], v[20:21], v[22:23]
	v_fma_f64 v[16:17], v[62:63], v[16:17], v[18:19]
	;; [unrolled: 1-line block ×3, first 2 shown]
	v_fma_f64 v[62:63], v[85:86], v[24:25], -v[128:129]
	v_fma_f64 v[64:65], v[87:88], v[24:25], v[26:27]
	v_fma_f64 v[70:71], v[89:90], v[32:33], -v[132:133]
	v_fma_f64 v[85:86], v[91:92], v[32:33], v[34:35]
	v_add_f64 v[20:21], v[72:73], v[14:15]
	v_add_f64 v[22:23], v[48:49], v[72:73]
	;; [unrolled: 1-line block ×3, first 2 shown]
	v_add_f64 v[26:27], v[12:13], -v[8:9]
	v_add_f64 v[12:13], v[50:51], v[12:13]
	v_add_f64 v[32:33], v[10:11], v[58:59]
	v_mul_f64 v[134:135], v[116:117], v[42:43]
	v_mul_f64 v[42:43], v[114:115], v[42:43]
	v_fma_f64 v[18:19], v[68:69], v[28:29], -v[126:127]
	v_fma_f64 v[66:67], v[101:102], v[36:37], -v[130:131]
	v_fma_f64 v[68:69], v[103:104], v[36:37], v[38:39]
	v_fma_f64 v[28:29], v[20:21], -0.5, v[48:49]
	v_add_f64 v[30:31], v[72:73], -v[14:15]
	v_fma_f64 v[36:37], v[24:25], -0.5, v[50:51]
	v_add_f64 v[20:21], v[22:23], v[14:15]
	v_add_f64 v[22:23], v[12:13], v[8:9]
	;; [unrolled: 1-line block ×3, first 2 shown]
	v_fma_f64 v[12:13], v[32:33], -0.5, v[52:53]
	v_add_f64 v[14:15], v[56:57], -v[16:17]
	v_mul_f64 v[136:137], v[120:121], v[46:47]
	v_mul_f64 v[46:47], v[118:119], v[46:47]
	v_fma_f64 v[87:88], v[114:115], v[40:41], -v[134:135]
	v_fma_f64 v[89:90], v[116:117], v[40:41], v[42:43]
	v_add_f64 v[34:35], v[52:53], v[10:11]
	v_fma_f64 v[24:25], v[26:27], s[6:7], v[28:29]
	v_fma_f64 v[28:29], v[26:27], s[8:9], v[28:29]
	;; [unrolled: 1-line block ×3, first 2 shown]
	v_add_f64 v[38:39], v[54:55], v[56:57]
	v_fma_f64 v[30:31], v[30:31], s[6:7], v[36:37]
	v_add_f64 v[42:43], v[18:19], v[62:63]
	v_fma_f64 v[8:9], v[8:9], -0.5, v[54:55]
	v_add_f64 v[10:11], v[10:11], -v[58:59]
	v_fma_f64 v[36:37], v[14:15], s[6:7], v[12:13]
	v_fma_f64 v[40:41], v[14:15], s[8:9], v[12:13]
	v_add_f64 v[12:13], v[60:61], v[64:65]
	v_fma_f64 v[93:94], v[120:121], v[44:45], v[46:47]
	v_add_f64 v[32:33], v[34:35], v[58:59]
	v_add_f64 v[34:35], v[38:39], v[16:17]
	;; [unrolled: 1-line block ×3, first 2 shown]
	v_fma_f64 v[16:17], v[42:43], -0.5, v[77:78]
	v_add_f64 v[46:47], v[60:61], -v[64:65]
	v_fma_f64 v[38:39], v[10:11], s[8:9], v[8:9]
	v_add_f64 v[50:51], v[66:67], v[70:71]
	v_fma_f64 v[42:43], v[10:11], s[6:7], v[8:9]
	v_add_f64 v[8:9], v[79:80], v[60:61]
	v_fma_f64 v[10:11], v[12:13], -0.5, v[79:80]
	v_add_f64 v[12:13], v[18:19], -v[62:63]
	v_fma_f64 v[91:92], v[118:119], v[44:45], -v[136:137]
	v_add_f64 v[44:45], v[14:15], v[62:63]
	v_fma_f64 v[48:49], v[46:47], s[6:7], v[16:17]
	v_add_f64 v[14:15], v[81:82], v[66:67]
	v_fma_f64 v[18:19], v[50:51], -0.5, v[81:82]
	v_add_f64 v[58:59], v[68:69], -v[85:86]
	v_fma_f64 v[52:53], v[46:47], s[8:9], v[16:17]
	v_add_f64 v[46:47], v[8:9], v[64:65]
	v_fma_f64 v[50:51], v[12:13], s[8:9], v[10:11]
	v_add_f64 v[8:9], v[68:69], v[85:86]
	v_fma_f64 v[54:55], v[12:13], s[6:7], v[10:11]
	v_add_f64 v[12:13], v[89:90], v[93:94]
	v_add_f64 v[10:11], v[87:88], v[91:92]
	v_add_f64 v[56:57], v[14:15], v[70:71]
	v_fma_f64 v[60:61], v[58:59], s[6:7], v[18:19]
	v_fma_f64 v[64:65], v[58:59], s[8:9], v[18:19]
	v_add_f64 v[14:15], v[83:84], v[68:69]
	v_fma_f64 v[8:9], v[8:9], -0.5, v[83:84]
	v_add_f64 v[16:17], v[66:67], -v[70:71]
	v_add_f64 v[18:19], v[97:98], v[87:88]
	v_fma_f64 v[72:73], v[12:13], -0.5, v[99:100]
	v_add_f64 v[77:78], v[87:88], -v[91:92]
	v_fma_f64 v[10:11], v[10:11], -0.5, v[97:98]
	v_add_f64 v[68:69], v[89:90], -v[93:94]
	v_add_f64 v[70:71], v[99:100], v[89:90]
	v_add_f64 v[58:59], v[14:15], v[85:86]
	v_fma_f64 v[62:63], v[16:17], s[8:9], v[8:9]
	v_fma_f64 v[66:67], v[16:17], s[6:7], v[8:9]
	v_add_f64 v[8:9], v[18:19], v[91:92]
	v_fma_f64 v[14:15], v[77:78], s[8:9], v[72:73]
	v_fma_f64 v[18:19], v[77:78], s[6:7], v[72:73]
	v_mov_b32_e32 v77, 4
	v_fma_f64 v[12:13], v[68:69], s[6:7], v[10:11]
	v_fma_f64 v[16:17], v[68:69], s[8:9], v[10:11]
	v_mul_u32_u24_e32 v68, 0x330, v107
	v_lshlrev_b32_sdwa v69, v77, v111 dst_sel:DWORD dst_unused:UNUSED_PAD src0_sel:DWORD src1_sel:BYTE_0
	v_add3_u32 v68, 0, v68, v69
	v_add_f64 v[10:11], v[70:71], v[93:94]
	ds_write_b128 v68, v[20:23]
	ds_write_b128 v68, v[24:27] offset:272
	ds_write_b128 v68, v[28:31] offset:544
	v_mul_u32_u24_e32 v20, 0x330, v138
	v_lshlrev_b32_sdwa v21, v77, v139 dst_sel:DWORD dst_unused:UNUSED_PAD src0_sel:DWORD src1_sel:BYTE_0
	v_add3_u32 v20, 0, v20, v21
	ds_write_b128 v20, v[32:35]
	ds_write_b128 v20, v[36:39] offset:272
	ds_write_b128 v20, v[40:43] offset:544
	v_mul_u32_u24_e32 v20, 0x330, v140
	v_lshlrev_b32_e32 v21, 4, v141
	v_add3_u32 v20, 0, v20, v21
	ds_write_b128 v20, v[44:47]
	ds_write_b128 v20, v[48:51] offset:272
	ds_write_b128 v20, v[52:55] offset:544
	v_mul_u32_u24_e32 v20, 0x330, v142
	v_lshlrev_b32_e32 v21, 4, v143
	;; [unrolled: 6-line block ×3, first 2 shown]
	v_add3_u32 v20, 0, v20, v21
	ds_write_b128 v20, v[8:11]
	ds_write_b128 v20, v[12:15] offset:272
	ds_write_b128 v20, v[16:19] offset:544
	s_waitcnt lgkmcnt(0)
	s_barrier
	ds_read_b128 v[28:31], v242
	ds_read_b128 v[24:27], v242 offset:1632
	ds_read_b128 v[52:55], v242 offset:4080
	;; [unrolled: 1-line block ×11, first 2 shown]
                                        ; implicit-def: $vgpr22_vgpr23
	s_and_saveexec_b64 s[2:3], vcc
	s_cbranch_execz .LBB0_17
; %bb.16:
	ds_read_b128 v[8:11], v242 offset:3264
	ds_read_b128 v[12:15], v242 offset:7344
	;; [unrolled: 1-line block ×6, first 2 shown]
.LBB0_17:
	s_or_b64 exec, exec, s[2:3]
	v_subrev_u32_e32 v72, 51, v110
	v_cndmask_b32_e32 v111, v72, v110, vcc
	v_mul_i32_i24_e32 v72, 5, v111
	v_mov_b32_e32 v73, 0
	v_lshlrev_b64 v[78:79], 4, v[72:73]
	v_mov_b32_e32 v72, s13
	v_add_co_u32_e64 v94, s[2:3], s12, v78
	v_addc_co_u32_e64 v95, s[2:3], v72, v79, s[2:3]
	s_movk_i32 s2, 0xa1
	v_mul_lo_u16_sdwa v72, v75, s2 dst_sel:DWORD dst_unused:UNUSED_PAD src0_sel:BYTE_0 src1_sel:DWORD
	v_lshrrev_b16_e32 v72, 13, v72
	v_mul_lo_u16_e32 v96, 51, v72
	global_load_dwordx4 v[78:81], v[94:95], off offset:560
	global_load_dwordx4 v[82:85], v[94:95], off offset:544
	global_load_dwordx4 v[86:89], v[94:95], off offset:592
	global_load_dwordx4 v[90:93], v[94:95], off offset:576
	v_sub_u16_e32 v144, v75, v96
	global_load_dwordx4 v[94:97], v[94:95], off offset:608
	v_mul_u32_u24_sdwa v76, v144, v76 dst_sel:DWORD dst_unused:UNUSED_PAD src0_sel:BYTE_0 src1_sel:DWORD
	v_lshlrev_b32_e32 v76, 4, v76
	global_load_dwordx4 v[98:101], v76, s[12:13] offset:544
	global_load_dwordx4 v[102:105], v76, s[12:13] offset:560
	;; [unrolled: 1-line block ×5, first 2 shown]
	v_mov_b32_e32 v76, 0x1320
	v_cmp_lt_u32_e64 s[2:3], 50, v110
	v_cndmask_b32_e64 v76, 0, v76, s[2:3]
	s_waitcnt vmcnt(0) lgkmcnt(0)
	s_barrier
	v_mul_f64 v[126:127], v[58:59], v[80:81]
	v_mul_f64 v[106:107], v[54:55], v[84:85]
	;; [unrolled: 1-line block ×20, first 2 shown]
	v_fma_f64 v[54:55], v[54:55], v[82:83], v[84:85]
	v_fma_f64 v[56:57], v[56:57], v[78:79], -v[126:127]
	v_fma_f64 v[60:61], v[60:61], v[90:91], -v[128:129]
	v_fma_f64 v[62:63], v[62:63], v[90:91], v[92:93]
	v_fma_f64 v[64:65], v[64:65], v[86:87], -v[130:131]
	v_fma_f64 v[68:69], v[68:69], v[94:95], -v[132:133]
	v_fma_f64 v[70:71], v[70:71], v[94:95], v[96:97]
	v_fma_f64 v[52:53], v[52:53], v[82:83], -v[106:107]
	v_fma_f64 v[58:59], v[58:59], v[78:79], v[80:81]
	v_fma_f64 v[66:67], v[66:67], v[86:87], v[88:89]
	;; [unrolled: 1-line block ×3, first 2 shown]
	v_fma_f64 v[36:37], v[36:37], v[102:103], -v[136:137]
	v_fma_f64 v[38:39], v[38:39], v[102:103], v[104:105]
	v_fma_f64 v[40:41], v[40:41], v[114:115], -v[138:139]
	v_fma_f64 v[42:43], v[42:43], v[114:115], v[116:117]
	;; [unrolled: 2-line block ×4, first 2 shown]
	v_add_f64 v[80:81], v[56:57], v[64:65]
	v_add_f64 v[88:89], v[60:61], v[68:69]
	v_add_f64 v[90:91], v[62:63], -v[70:71]
	v_add_f64 v[92:93], v[54:55], v[62:63]
	v_add_f64 v[62:63], v[62:63], v[70:71]
	v_fma_f64 v[32:33], v[32:33], v[98:99], -v[134:135]
	v_add_f64 v[78:79], v[28:29], v[56:57]
	v_add_f64 v[82:83], v[58:59], -v[66:67]
	v_add_f64 v[84:85], v[30:31], v[58:59]
	v_add_f64 v[58:59], v[58:59], v[66:67]
	;; [unrolled: 1-line block ×3, first 2 shown]
	v_add_f64 v[60:61], v[60:61], -v[68:69]
	v_add_f64 v[94:95], v[24:25], v[36:37]
	v_add_f64 v[96:97], v[36:37], v[44:45]
	v_add_f64 v[98:99], v[38:39], -v[46:47]
	v_add_f64 v[100:101], v[26:27], v[38:39]
	v_add_f64 v[38:39], v[38:39], v[46:47]
	;; [unrolled: 1-line block ×3, first 2 shown]
	v_add_f64 v[106:107], v[42:43], -v[50:51]
	v_add_f64 v[114:115], v[34:35], v[42:43]
	v_add_f64 v[42:43], v[42:43], v[50:51]
	v_fma_f64 v[28:29], v[80:81], -0.5, v[28:29]
	v_fma_f64 v[52:53], v[88:89], -0.5, v[52:53]
	;; [unrolled: 1-line block ×3, first 2 shown]
	v_add_f64 v[56:57], v[56:57], -v[64:65]
	v_add_f64 v[36:37], v[36:37], -v[44:45]
	v_add_f64 v[102:103], v[32:33], v[40:41]
	v_add_f64 v[64:65], v[78:79], v[64:65]
	;; [unrolled: 1-line block ×3, first 2 shown]
	v_fma_f64 v[30:31], v[58:59], -0.5, v[30:31]
	v_add_f64 v[58:59], v[86:87], v[68:69]
	v_add_f64 v[68:69], v[92:93], v[70:71]
	v_add_f64 v[62:63], v[94:95], v[44:45]
	v_fma_f64 v[44:45], v[96:97], -0.5, v[24:25]
	v_add_f64 v[70:71], v[100:101], v[46:47]
	v_fma_f64 v[38:39], v[38:39], -0.5, v[26:27]
	v_fma_f64 v[32:33], v[104:105], -0.5, v[32:33]
	;; [unrolled: 1-line block ×3, first 2 shown]
	v_fma_f64 v[42:43], v[82:83], s[6:7], v[28:29]
	v_fma_f64 v[46:47], v[82:83], s[8:9], v[28:29]
	;; [unrolled: 1-line block ×4, first 2 shown]
	v_add_f64 v[40:41], v[40:41], -v[48:49]
	v_fma_f64 v[54:55], v[60:61], s[6:7], v[54:55]
	v_fma_f64 v[78:79], v[56:57], s[8:9], v[30:31]
	;; [unrolled: 1-line block ×4, first 2 shown]
	v_add_f64 v[24:25], v[64:65], v[58:59]
	v_add_f64 v[26:27], v[66:67], v[68:69]
	v_add_f64 v[28:29], v[64:65], -v[58:59]
	v_add_f64 v[30:31], v[66:67], -v[68:69]
	v_fma_f64 v[64:65], v[98:99], s[6:7], v[44:45]
	v_fma_f64 v[66:67], v[98:99], s[8:9], v[44:45]
	;; [unrolled: 1-line block ×4, first 2 shown]
	v_mul_f64 v[36:37], v[82:83], s[6:7]
	v_mul_f64 v[44:45], v[80:81], s[8:9]
	v_fma_f64 v[68:69], v[106:107], s[8:9], v[32:33]
	v_mul_f64 v[58:59], v[54:55], -0.5
	v_fma_f64 v[60:61], v[40:41], s[8:9], v[34:35]
	v_fma_f64 v[88:89], v[106:107], s[6:7], v[32:33]
	;; [unrolled: 1-line block ×3, first 2 shown]
	v_mul_f64 v[38:39], v[52:53], -0.5
	v_fma_f64 v[40:41], v[80:81], 0.5, v[36:37]
	v_fma_f64 v[80:81], v[82:83], 0.5, v[44:45]
	v_mul_f64 v[82:83], v[68:69], -0.5
	v_fma_f64 v[52:53], v[52:53], s[8:9], v[58:59]
	v_mul_f64 v[58:59], v[60:61], s[6:7]
	v_mul_f64 v[92:93], v[88:89], s[8:9]
	v_mul_f64 v[94:95], v[90:91], -0.5
	v_fma_f64 v[54:55], v[54:55], s[6:7], v[38:39]
	v_add_f64 v[96:97], v[102:103], v[48:49]
	v_add_f64 v[32:33], v[42:43], v[40:41]
	v_fma_f64 v[82:83], v[90:91], s[6:7], v[82:83]
	v_add_f64 v[90:91], v[114:115], v[50:51]
	v_fma_f64 v[88:89], v[88:89], 0.5, v[58:59]
	v_fma_f64 v[92:93], v[60:61], 0.5, v[92:93]
	v_fma_f64 v[94:95], v[68:69], s[8:9], v[94:95]
	v_add_f64 v[34:35], v[78:79], v[80:81]
	v_add_f64 v[36:37], v[46:47], v[54:55]
	v_add_f64 v[38:39], v[56:57], v[52:53]
	v_add_f64 v[48:49], v[62:63], v[96:97]
	v_add_f64 v[50:51], v[70:71], v[90:91]
	v_add_f64 v[44:45], v[46:47], -v[54:55]
	v_add_f64 v[46:47], v[56:57], -v[52:53]
	v_add_f64 v[52:53], v[64:65], v[88:89]
	v_add_f64 v[54:55], v[84:85], v[92:93]
	v_add_f64 v[40:41], v[42:43], -v[40:41]
	v_add_f64 v[42:43], v[78:79], -v[80:81]
	v_add_f64 v[56:57], v[66:67], v[82:83]
	v_add_f64 v[58:59], v[86:87], v[94:95]
	v_add_f64 v[60:61], v[62:63], -v[96:97]
	v_add_f64 v[62:63], v[70:71], -v[90:91]
	;; [unrolled: 1-line block ×5, first 2 shown]
	v_lshlrev_b32_e32 v78, 4, v111
	v_add_f64 v[70:71], v[86:87], -v[94:95]
	v_add3_u32 v76, 0, v76, v78
	ds_write_b128 v76, v[24:27]
	ds_write_b128 v76, v[32:35] offset:816
	ds_write_b128 v76, v[36:39] offset:1632
	;; [unrolled: 1-line block ×5, first 2 shown]
	v_mul_u32_u24_e32 v24, 0x1320, v72
	v_lshlrev_b32_sdwa v25, v77, v144 dst_sel:DWORD dst_unused:UNUSED_PAD src0_sel:DWORD src1_sel:BYTE_0
	v_add3_u32 v24, 0, v24, v25
	ds_write_b128 v24, v[48:51]
	ds_write_b128 v24, v[52:55] offset:816
	ds_write_b128 v24, v[56:59] offset:1632
	;; [unrolled: 1-line block ×5, first 2 shown]
	s_and_saveexec_b64 s[2:3], vcc
	s_cbranch_execz .LBB0_19
; %bb.18:
	s_mov_b32 s6, 0xa0a1
	v_mul_u32_u24_sdwa v24, v74, s6 dst_sel:DWORD dst_unused:UNUSED_PAD src0_sel:WORD_0 src1_sel:DWORD
	v_lshrrev_b32_e32 v24, 21, v24
	v_mul_lo_u16_e32 v24, 51, v24
	v_sub_u16_e32 v54, v74, v24
	v_mul_u32_u24_e32 v24, 5, v54
	v_lshlrev_b32_e32 v44, 4, v24
	global_load_dwordx4 v[24:27], v44, s[12:13] offset:560
	global_load_dwordx4 v[28:31], v44, s[12:13] offset:592
	;; [unrolled: 1-line block ×5, first 2 shown]
	s_mov_b32 s6, 0xe8584caa
	s_mov_b32 s7, 0x3febb67a
	;; [unrolled: 1-line block ×3, first 2 shown]
	s_waitcnt vmcnt(4)
	v_mul_f64 v[44:45], v[18:19], v[26:27]
	s_waitcnt vmcnt(3)
	v_mul_f64 v[46:47], v[6:7], v[30:31]
	;; [unrolled: 2-line block ×3, first 2 shown]
	v_mul_f64 v[34:35], v[0:1], v[34:35]
	s_waitcnt vmcnt(1)
	v_mul_f64 v[50:51], v[20:21], v[38:39]
	v_mul_f64 v[38:39], v[22:23], v[38:39]
	;; [unrolled: 1-line block ×4, first 2 shown]
	s_waitcnt vmcnt(0)
	v_mul_f64 v[52:53], v[14:15], v[42:43]
	v_mul_f64 v[42:43], v[12:13], v[42:43]
	v_fma_f64 v[0:1], v[0:1], v[32:33], -v[48:49]
	v_fma_f64 v[2:3], v[2:3], v[32:33], v[34:35]
	v_fma_f64 v[22:23], v[22:23], v[36:37], v[50:51]
	v_fma_f64 v[20:21], v[20:21], v[36:37], -v[38:39]
	v_fma_f64 v[16:17], v[16:17], v[24:25], -v[44:45]
	v_fma_f64 v[18:19], v[18:19], v[24:25], v[26:27]
	v_fma_f64 v[6:7], v[6:7], v[28:29], v[30:31]
	v_fma_f64 v[12:13], v[12:13], v[40:41], -v[52:53]
	v_fma_f64 v[14:15], v[14:15], v[40:41], v[42:43]
	v_fma_f64 v[4:5], v[4:5], v[28:29], -v[46:47]
	v_add_f64 v[24:25], v[2:3], v[22:23]
	v_add_f64 v[26:27], v[0:1], v[20:21]
	v_add_f64 v[32:33], v[2:3], -v[22:23]
	v_add_f64 v[34:35], v[0:1], -v[20:21]
	v_add_f64 v[30:31], v[18:19], v[6:7]
	v_add_f64 v[36:37], v[10:11], v[18:19]
	;; [unrolled: 1-line block ×3, first 2 shown]
	v_add_f64 v[28:29], v[16:17], -v[4:5]
	v_fma_f64 v[14:15], v[24:25], -0.5, v[14:15]
	v_fma_f64 v[24:25], v[26:27], -0.5, v[12:13]
	v_add_f64 v[26:27], v[16:17], v[4:5]
	v_add_f64 v[16:17], v[8:9], v[16:17]
	;; [unrolled: 1-line block ×3, first 2 shown]
	v_fma_f64 v[10:11], v[30:31], -0.5, v[10:11]
	v_add_f64 v[18:19], v[18:19], -v[6:7]
	v_add_f64 v[6:7], v[36:37], v[6:7]
	v_fma_f64 v[12:13], v[34:35], s[6:7], v[14:15]
	v_fma_f64 v[30:31], v[32:33], s[6:7], v[24:25]
	;; [unrolled: 1-line block ×4, first 2 shown]
	v_fma_f64 v[8:9], v[26:27], -0.5, v[8:9]
	v_add_f64 v[4:5], v[16:17], v[4:5]
	v_add_f64 v[16:17], v[0:1], v[20:21]
	v_fma_f64 v[26:27], v[28:29], s[6:7], v[10:11]
	v_fma_f64 v[28:29], v[28:29], s[8:9], v[10:11]
	v_mul_f64 v[20:21], v[30:31], s[8:9]
	v_mul_f64 v[10:11], v[14:15], s[6:7]
	v_mul_f64 v[0:1], v[12:13], -0.5
	v_mul_f64 v[32:33], v[24:25], -0.5
	v_add_f64 v[22:23], v[2:3], v[22:23]
	v_fma_f64 v[34:35], v[18:19], s[8:9], v[8:9]
	v_fma_f64 v[8:9], v[18:19], s[6:7], v[8:9]
	v_fma_f64 v[20:21], v[14:15], 0.5, v[20:21]
	v_fma_f64 v[30:31], v[30:31], 0.5, v[10:11]
	v_fma_f64 v[24:25], v[24:25], s[8:9], v[0:1]
	v_fma_f64 v[32:33], v[12:13], s[6:7], v[32:33]
	v_add_f64 v[2:3], v[6:7], -v[22:23]
	v_add_f64 v[0:1], v[4:5], -v[16:17]
	v_add_f64 v[6:7], v[6:7], v[22:23]
	v_add_f64 v[4:5], v[4:5], v[16:17]
	v_add_f64 v[14:15], v[28:29], -v[20:21]
	v_add_f64 v[22:23], v[28:29], v[20:21]
	v_add_f64 v[20:21], v[8:9], v[30:31]
	v_add_f64 v[18:19], v[26:27], v[24:25]
	v_add_f64 v[16:17], v[34:35], v[32:33]
	v_add_f64 v[12:13], v[8:9], -v[30:31]
	v_add_f64 v[10:11], v[26:27], -v[24:25]
	;; [unrolled: 1-line block ×3, first 2 shown]
	v_lshl_add_u32 v24, v54, 4, 0
	ds_write_b128 v24, v[4:7] offset:19584
	ds_write_b128 v24, v[0:3] offset:22032
	;; [unrolled: 1-line block ×6, first 2 shown]
.LBB0_19:
	s_or_b64 exec, exec, s[2:3]
	v_lshlrev_b32_e32 v72, 2, v110
	v_lshlrev_b64 v[0:1], 4, v[72:73]
	v_mov_b32_e32 v34, s13
	v_add_co_u32_e64 v0, s[2:3], s12, v0
	v_addc_co_u32_e64 v1, s[2:3], v34, v1, s[2:3]
	s_movk_i32 s6, 0x1210
	v_add_co_u32_e64 v16, s[2:3], s6, v0
	v_addc_co_u32_e64 v17, s[2:3], 0, v1, s[2:3]
	s_movk_i32 s7, 0x1000
	v_add_co_u32_e64 v18, s[2:3], s7, v0
	v_addc_co_u32_e64 v19, s[2:3], 0, v1, s[2:3]
	s_waitcnt lgkmcnt(0)
	s_barrier
	global_load_dwordx4 v[0:3], v[18:19], off offset:528
	global_load_dwordx4 v[4:7], v[16:17], off offset:48
	;; [unrolled: 1-line block ×4, first 2 shown]
	v_lshlrev_b32_e32 v72, 2, v75
	v_lshlrev_b64 v[16:17], 4, v[72:73]
	v_lshlrev_b32_e32 v72, 2, v74
	v_add_co_u32_e64 v20, s[2:3], s12, v16
	v_addc_co_u32_e64 v21, s[2:3], v34, v17, s[2:3]
	v_add_co_u32_e64 v16, s[2:3], s7, v20
	v_addc_co_u32_e64 v17, s[2:3], 0, v21, s[2:3]
	v_add_co_u32_e64 v32, s[2:3], s6, v20
	global_load_dwordx4 v[16:19], v[16:17], off offset:528
	v_addc_co_u32_e64 v33, s[2:3], 0, v21, s[2:3]
	global_load_dwordx4 v[20:23], v[32:33], off offset:16
	global_load_dwordx4 v[24:27], v[32:33], off offset:32
	;; [unrolled: 1-line block ×3, first 2 shown]
	v_lshlrev_b64 v[32:33], 4, v[72:73]
	s_mov_b32 s9, 0xbfee6f0e
	v_add_co_u32_e64 v36, s[2:3], s12, v32
	v_addc_co_u32_e64 v37, s[2:3], v34, v33, s[2:3]
	v_add_co_u32_e64 v32, s[2:3], s7, v36
	v_addc_co_u32_e64 v33, s[2:3], 0, v37, s[2:3]
	global_load_dwordx4 v[32:35], v[32:33], off offset:528
	v_add_co_u32_e64 v48, s[2:3], s6, v36
	v_addc_co_u32_e64 v49, s[2:3], 0, v37, s[2:3]
	global_load_dwordx4 v[36:39], v[48:49], off offset:16
	global_load_dwordx4 v[40:43], v[48:49], off offset:32
	;; [unrolled: 1-line block ×3, first 2 shown]
	ds_read_b128 v[48:51], v242
	ds_read_b128 v[52:55], v242 offset:1632
	ds_read_b128 v[56:59], v242 offset:9792
	;; [unrolled: 1-line block ×14, first 2 shown]
	s_mov_b32 s2, 0x134454ff
	s_mov_b32 s3, 0x3fee6f0e
	;; [unrolled: 1-line block ×9, first 2 shown]
	s_waitcnt vmcnt(0) lgkmcnt(0)
	s_barrier
	v_mul_f64 v[114:115], v[74:75], v[2:3]
	v_mul_f64 v[2:3], v[72:73], v[2:3]
	;; [unrolled: 1-line block ×8, first 2 shown]
	v_fma_f64 v[72:73], v[72:73], v[0:1], -v[114:115]
	v_fma_f64 v[74:75], v[74:75], v[0:1], v[2:3]
	v_fma_f64 v[2:3], v[56:57], v[12:13], -v[116:117]
	v_fma_f64 v[14:15], v[58:59], v[12:13], v[14:15]
	;; [unrolled: 2-line block ×4, first 2 shown]
	v_mul_f64 v[122:123], v[82:83], v[18:19]
	v_mul_f64 v[18:19], v[80:81], v[18:19]
	;; [unrolled: 1-line block ×8, first 2 shown]
	v_fma_f64 v[26:27], v[80:81], v[16:17], -v[122:123]
	v_fma_f64 v[58:59], v[82:83], v[16:17], v[18:19]
	v_fma_f64 v[62:63], v[62:63], v[20:21], v[0:1]
	v_fma_f64 v[64:65], v[96:97], v[24:25], -v[4:5]
	v_add_f64 v[18:19], v[48:49], v[72:73]
	v_fma_f64 v[66:67], v[98:99], v[24:25], v[22:23]
	v_mul_f64 v[0:1], v[86:87], v[34:35]
	v_mul_f64 v[4:5], v[84:85], v[34:35]
	v_fma_f64 v[22:23], v[68:69], v[28:29], -v[56:57]
	v_fma_f64 v[30:31], v[70:71], v[28:29], v[30:31]
	v_mul_f64 v[16:17], v[94:95], v[38:39]
	v_add_f64 v[24:25], v[2:3], v[12:13]
	v_mul_f64 v[28:29], v[100:101], v[42:43]
	v_fma_f64 v[60:61], v[60:61], v[20:21], -v[124:125]
	v_fma_f64 v[56:57], v[84:85], v[32:33], -v[0:1]
	v_mul_f64 v[0:1], v[102:103], v[42:43]
	v_fma_f64 v[42:43], v[86:87], v[32:33], v[4:5]
	v_add_f64 v[4:5], v[18:19], v[2:3]
	v_mul_f64 v[20:21], v[92:93], v[38:39]
	v_fma_f64 v[68:69], v[92:93], v[36:37], -v[16:17]
	v_fma_f64 v[16:17], v[24:25], -0.5, v[48:49]
	v_add_f64 v[18:19], v[74:75], -v[6:7]
	v_add_f64 v[32:33], v[72:73], v[8:9]
	v_fma_f64 v[80:81], v[100:101], v[40:41], -v[0:1]
	v_mul_f64 v[0:1], v[106:107], v[46:47]
	v_add_f64 v[4:5], v[4:5], v[12:13]
	v_fma_f64 v[70:71], v[94:95], v[36:37], v[20:21]
	v_fma_f64 v[82:83], v[102:103], v[40:41], v[28:29]
	v_mul_f64 v[20:21], v[104:105], v[46:47]
	v_fma_f64 v[24:25], v[18:19], s[2:3], v[16:17]
	v_add_f64 v[28:29], v[14:15], -v[10:11]
	v_add_f64 v[34:35], v[72:73], -v[2:3]
	;; [unrolled: 1-line block ×3, first 2 shown]
	v_fma_f64 v[46:47], v[104:105], v[44:45], -v[0:1]
	v_add_f64 v[0:1], v[4:5], v[8:9]
	v_fma_f64 v[4:5], v[32:33], -0.5, v[48:49]
	v_add_f64 v[32:33], v[50:51], v[74:75]
	v_fma_f64 v[84:85], v[106:107], v[44:45], v[20:21]
	v_fma_f64 v[20:21], v[28:29], s[6:7], v[24:25]
	;; [unrolled: 1-line block ×3, first 2 shown]
	v_add_f64 v[24:25], v[34:35], v[36:37]
	v_add_f64 v[34:35], v[14:15], v[10:11]
	v_add_f64 v[38:39], v[2:3], -v[72:73]
	v_fma_f64 v[36:37], v[28:29], s[8:9], v[4:5]
	v_add_f64 v[40:41], v[12:13], -v[8:9]
	v_fma_f64 v[4:5], v[28:29], s[2:3], v[4:5]
	v_add_f64 v[32:33], v[32:33], v[14:15]
	v_add_f64 v[44:45], v[72:73], -v[8:9]
	v_fma_f64 v[8:9], v[28:29], s[14:15], v[16:17]
	v_fma_f64 v[34:35], v[34:35], -0.5, v[50:51]
	v_add_f64 v[48:49], v[62:63], -v[66:67]
	v_fma_f64 v[16:17], v[18:19], s[6:7], v[36:37]
	v_add_f64 v[28:29], v[38:39], v[40:41]
	v_fma_f64 v[18:19], v[18:19], s[14:15], v[4:5]
	v_add_f64 v[32:33], v[32:33], v[10:11]
	v_add_f64 v[38:39], v[74:75], v[6:7]
	v_add_f64 v[40:41], v[2:3], -v[12:13]
	v_fma_f64 v[36:37], v[44:45], s[8:9], v[34:35]
	v_fma_f64 v[4:5], v[24:25], s[16:17], v[20:21]
	;; [unrolled: 1-line block ×5, first 2 shown]
	v_add_f64 v[2:3], v[32:33], v[6:7]
	v_fma_f64 v[18:19], v[38:39], -0.5, v[50:51]
	v_add_f64 v[24:25], v[74:75], -v[14:15]
	v_add_f64 v[28:29], v[6:7], -v[10:11]
	v_add_f64 v[32:33], v[52:53], v[26:27]
	v_fma_f64 v[20:21], v[40:41], s[14:15], v[36:37]
	v_fma_f64 v[34:35], v[44:45], s[2:3], v[34:35]
	v_add_f64 v[36:37], v[60:61], v[64:65]
	v_add_f64 v[14:15], v[14:15], -v[74:75]
	v_fma_f64 v[38:39], v[40:41], s[2:3], v[18:19]
	v_add_f64 v[6:7], v[10:11], -v[6:7]
	v_fma_f64 v[10:11], v[40:41], s[8:9], v[18:19]
	v_add_f64 v[18:19], v[24:25], v[28:29]
	v_add_f64 v[24:25], v[32:33], v[60:61]
	v_fma_f64 v[28:29], v[40:41], s[6:7], v[34:35]
	v_fma_f64 v[32:33], v[36:37], -0.5, v[52:53]
	v_add_f64 v[34:35], v[58:59], -v[30:31]
	v_fma_f64 v[36:37], v[44:45], s[14:15], v[38:39]
	v_add_f64 v[38:39], v[14:15], v[6:7]
	v_fma_f64 v[40:41], v[44:45], s[6:7], v[10:11]
	v_add_f64 v[44:45], v[26:27], v[22:23]
	v_add_f64 v[24:25], v[24:25], v[64:65]
	v_fma_f64 v[6:7], v[18:19], s[16:17], v[20:21]
	v_fma_f64 v[10:11], v[18:19], s[16:17], v[28:29]
	v_fma_f64 v[28:29], v[34:35], s[2:3], v[32:33]
	v_fma_f64 v[32:33], v[34:35], s[8:9], v[32:33]
	v_fma_f64 v[14:15], v[38:39], s[16:17], v[36:37]
	v_fma_f64 v[18:19], v[38:39], s[16:17], v[40:41]
	v_fma_f64 v[36:37], v[44:45], -0.5, v[52:53]
	v_add_f64 v[20:21], v[24:25], v[22:23]
	v_add_f64 v[24:25], v[26:27], -v[60:61]
	v_add_f64 v[38:39], v[22:23], -v[64:65]
	v_add_f64 v[40:41], v[54:55], v[58:59]
	v_add_f64 v[44:45], v[62:63], v[66:67]
	v_fma_f64 v[28:29], v[48:49], s[6:7], v[28:29]
	v_add_f64 v[52:53], v[60:61], -v[26:27]
	v_fma_f64 v[50:51], v[48:49], s[8:9], v[36:37]
	v_add_f64 v[72:73], v[64:65], -v[22:23]
	v_fma_f64 v[32:33], v[48:49], s[14:15], v[32:33]
	v_add_f64 v[38:39], v[24:25], v[38:39]
	v_fma_f64 v[36:37], v[48:49], s[2:3], v[36:37]
	v_add_f64 v[40:41], v[40:41], v[62:63]
	v_fma_f64 v[44:45], v[44:45], -0.5, v[54:55]
	v_add_f64 v[26:27], v[26:27], -v[22:23]
	v_fma_f64 v[22:23], v[34:35], s[6:7], v[50:51]
	v_add_f64 v[48:49], v[52:53], v[72:73]
	v_add_f64 v[52:53], v[60:61], -v[64:65]
	v_fma_f64 v[24:25], v[38:39], s[16:17], v[28:29]
	v_fma_f64 v[28:29], v[38:39], s[16:17], v[32:33]
	;; [unrolled: 1-line block ×3, first 2 shown]
	v_add_f64 v[38:39], v[40:41], v[66:67]
	v_add_f64 v[40:41], v[58:59], v[30:31]
	v_fma_f64 v[50:51], v[26:27], s[8:9], v[44:45]
	v_add_f64 v[60:61], v[68:69], v[80:81]
	v_fma_f64 v[32:33], v[48:49], s[16:17], v[22:23]
	v_add_f64 v[64:65], v[58:59], -v[62:63]
	v_add_f64 v[72:73], v[30:31], -v[66:67]
	v_fma_f64 v[36:37], v[48:49], s[16:17], v[34:35]
	v_add_f64 v[22:23], v[38:39], v[30:31]
	v_fma_f64 v[34:35], v[40:41], -0.5, v[54:55]
	v_fma_f64 v[38:39], v[52:53], s[14:15], v[50:51]
	v_fma_f64 v[48:49], v[60:61], -0.5, v[76:77]
	v_add_f64 v[50:51], v[42:43], -v[84:85]
	v_fma_f64 v[44:45], v[26:27], s[2:3], v[44:45]
	v_add_f64 v[40:41], v[76:77], v[56:57]
	v_add_f64 v[54:55], v[64:65], v[72:73]
	v_add_f64 v[58:59], v[62:63], -v[58:59]
	v_fma_f64 v[60:61], v[52:53], s[2:3], v[34:35]
	v_add_f64 v[30:31], v[66:67], -v[30:31]
	v_fma_f64 v[34:35], v[52:53], s[8:9], v[34:35]
	v_fma_f64 v[62:63], v[50:51], s[2:3], v[48:49]
	v_add_f64 v[64:65], v[70:71], -v[82:83]
	v_add_f64 v[66:67], v[56:57], -v[68:69]
	;; [unrolled: 1-line block ×3, first 2 shown]
	v_fma_f64 v[44:45], v[52:53], s[6:7], v[44:45]
	v_add_f64 v[52:53], v[56:57], v[46:47]
	v_add_f64 v[40:41], v[40:41], v[68:69]
	v_fma_f64 v[60:61], v[26:27], s[14:15], v[60:61]
	v_add_f64 v[58:59], v[58:59], v[30:31]
	v_fma_f64 v[74:75], v[26:27], s[6:7], v[34:35]
	v_fma_f64 v[62:63], v[64:65], s[6:7], v[62:63]
	v_add_f64 v[66:67], v[66:67], v[72:73]
	v_fma_f64 v[26:27], v[54:55], s[16:17], v[38:39]
	v_fma_f64 v[52:53], v[52:53], -0.5, v[76:77]
	v_add_f64 v[40:41], v[40:41], v[80:81]
	v_fma_f64 v[30:31], v[54:55], s[16:17], v[44:45]
	v_fma_f64 v[34:35], v[58:59], s[16:17], v[60:61]
	;; [unrolled: 1-line block ×3, first 2 shown]
	v_add_f64 v[54:55], v[70:71], v[82:83]
	v_fma_f64 v[44:45], v[66:67], s[16:17], v[62:63]
	v_add_f64 v[62:63], v[42:43], v[84:85]
	v_fma_f64 v[58:59], v[64:65], s[8:9], v[52:53]
	;; [unrolled: 2-line block ×3, first 2 shown]
	v_add_f64 v[60:61], v[68:69], -v[56:57]
	v_add_f64 v[72:73], v[80:81], -v[46:47]
	v_add_f64 v[74:75], v[78:79], v[42:43]
	v_fma_f64 v[54:55], v[54:55], -0.5, v[78:79]
	v_add_f64 v[46:47], v[56:57], -v[46:47]
	v_fma_f64 v[56:57], v[50:51], s[6:7], v[58:59]
	v_add_f64 v[58:59], v[68:69], -v[80:81]
	v_fma_f64 v[62:63], v[62:63], -0.5, v[78:79]
	v_fma_f64 v[48:49], v[64:65], s[14:15], v[48:49]
	v_add_f64 v[60:61], v[60:61], v[72:73]
	v_fma_f64 v[52:53], v[64:65], s[2:3], v[52:53]
	v_add_f64 v[64:65], v[74:75], v[70:71]
	v_fma_f64 v[68:69], v[46:47], s[8:9], v[54:55]
	v_add_f64 v[72:73], v[42:43], -v[70:71]
	v_add_f64 v[74:75], v[84:85], -v[82:83]
	v_fma_f64 v[54:55], v[46:47], s[2:3], v[54:55]
	v_fma_f64 v[76:77], v[58:59], s[2:3], v[62:63]
	v_add_f64 v[42:43], v[70:71], -v[42:43]
	v_add_f64 v[70:71], v[82:83], -v[84:85]
	v_fma_f64 v[62:63], v[58:59], s[8:9], v[62:63]
	v_fma_f64 v[50:51], v[50:51], s[14:15], v[52:53]
	v_add_f64 v[64:65], v[64:65], v[82:83]
	v_fma_f64 v[68:69], v[58:59], s[14:15], v[68:69]
	v_add_f64 v[72:73], v[72:73], v[74:75]
	v_fma_f64 v[54:55], v[58:59], s[6:7], v[54:55]
	v_fma_f64 v[58:59], v[46:47], s[14:15], v[76:77]
	v_add_f64 v[70:71], v[42:43], v[70:71]
	v_fma_f64 v[62:63], v[46:47], s[6:7], v[62:63]
	v_fma_f64 v[48:49], v[66:67], s[16:17], v[48:49]
	;; [unrolled: 1-line block ×4, first 2 shown]
	v_add_f64 v[42:43], v[64:65], v[84:85]
	v_fma_f64 v[46:47], v[72:73], s[16:17], v[68:69]
	v_fma_f64 v[50:51], v[72:73], s[16:17], v[54:55]
	;; [unrolled: 1-line block ×4, first 2 shown]
	ds_write_b128 v242, v[0:3]
	ds_write_b128 v242, v[4:7] offset:4896
	ds_write_b128 v242, v[12:15] offset:9792
	;; [unrolled: 1-line block ×14, first 2 shown]
	s_waitcnt lgkmcnt(0)
	s_barrier
	ds_read_b128 v[4:7], v242
	s_add_u32 s8, s12, 0x5e90
	v_lshlrev_b32_e32 v0, 4, v110
	s_addc_u32 s9, s13, 0
	v_sub_u32_e32 v12, 0, v0
	v_cmp_ne_u32_e64 s[2:3], 0, v110
                                        ; implicit-def: $vgpr2_vgpr3
                                        ; implicit-def: $vgpr8_vgpr9
                                        ; implicit-def: $vgpr10_vgpr11
	s_and_saveexec_b64 s[6:7], s[2:3]
	s_xor_b64 s[6:7], exec, s[6:7]
	s_cbranch_execz .LBB0_21
; %bb.20:
	v_mov_b32_e32 v111, 0
	v_lshlrev_b64 v[0:1], 4, v[110:111]
	v_mov_b32_e32 v2, s9
	v_add_co_u32_e64 v0, s[2:3], s8, v0
	v_addc_co_u32_e64 v1, s[2:3], v2, v1, s[2:3]
	global_load_dwordx4 v[0:3], v[0:1], off
	ds_read_b128 v[8:11], v12 offset:24480
	s_waitcnt lgkmcnt(0)
	v_add_f64 v[13:14], v[4:5], -v[8:9]
	v_add_f64 v[15:16], v[6:7], v[10:11]
	v_add_f64 v[6:7], v[6:7], -v[10:11]
	v_add_f64 v[4:5], v[4:5], v[8:9]
	v_mul_f64 v[10:11], v[13:14], 0.5
	v_mul_f64 v[13:14], v[15:16], 0.5
	v_mul_f64 v[6:7], v[6:7], 0.5
	s_waitcnt vmcnt(0)
	v_mul_f64 v[8:9], v[10:11], v[2:3]
	v_fma_f64 v[15:16], v[13:14], v[2:3], v[6:7]
	v_fma_f64 v[2:3], v[13:14], v[2:3], -v[6:7]
	v_fma_f64 v[17:18], v[4:5], 0.5, v[8:9]
	v_fma_f64 v[4:5], v[4:5], 0.5, -v[8:9]
	v_fma_f64 v[8:9], -v[0:1], v[10:11], v[15:16]
	v_fma_f64 v[2:3], -v[0:1], v[10:11], v[2:3]
	v_mov_b32_e32 v10, v110
	v_mov_b32_e32 v11, v111
	v_fma_f64 v[6:7], v[13:14], v[0:1], v[17:18]
	v_fma_f64 v[0:1], -v[13:14], v[0:1], v[4:5]
                                        ; implicit-def: $vgpr4_vgpr5
	ds_write_b64 v242, v[6:7]
.LBB0_21:
	s_andn2_saveexec_b64 s[2:3], s[6:7]
	s_cbranch_execz .LBB0_23
; %bb.22:
	s_waitcnt lgkmcnt(0)
	v_add_f64 v[2:3], v[4:5], v[6:7]
	v_mov_b32_e32 v15, 0
	ds_read_b64 v[13:14], v15 offset:12248
	v_add_f64 v[0:1], v[4:5], -v[6:7]
	v_mov_b32_e32 v8, 0
	v_mov_b32_e32 v10, 0
	;; [unrolled: 1-line block ×3, first 2 shown]
	s_waitcnt lgkmcnt(0)
	v_xor_b32_e32 v14, 0x80000000, v14
	ds_write_b64 v15, v[13:14] offset:12248
	ds_write_b64 v242, v[2:3]
	v_mov_b32_e32 v2, v8
	v_mov_b32_e32 v11, 0
	;; [unrolled: 1-line block ×3, first 2 shown]
.LBB0_23:
	s_or_b64 exec, exec, s[2:3]
	s_waitcnt lgkmcnt(0)
	v_lshlrev_b64 v[4:5], 4, v[10:11]
	v_mov_b32_e32 v6, s9
	v_add_co_u32_e64 v21, s[2:3], s8, v4
	v_addc_co_u32_e64 v22, s[2:3], v6, v5, s[2:3]
	global_load_dwordx4 v[4:7], v[21:22], off offset:1632
	global_load_dwordx4 v[13:16], v[21:22], off offset:3264
	ds_write_b64 v242, v[8:9] offset:8
	ds_write_b128 v12, v[0:3] offset:24480
	ds_read_b128 v[0:3], v242 offset:1632
	ds_read_b128 v[8:11], v12 offset:22848
	s_movk_i32 s2, 0x1000
	v_add_co_u32_e64 v27, s[2:3], s2, v21
	v_addc_co_u32_e64 v28, s[2:3], 0, v22, s[2:3]
	s_waitcnt lgkmcnt(0)
	v_add_f64 v[17:18], v[0:1], -v[8:9]
	v_add_f64 v[19:20], v[2:3], v[10:11]
	v_add_f64 v[2:3], v[2:3], -v[10:11]
	v_add_f64 v[0:1], v[0:1], v[8:9]
	s_movk_i32 s2, 0x2000
	v_mul_f64 v[10:11], v[17:18], 0.5
	v_mul_f64 v[17:18], v[19:20], 0.5
	v_mul_f64 v[2:3], v[2:3], 0.5
	s_waitcnt vmcnt(1)
	v_mul_f64 v[8:9], v[10:11], v[6:7]
	v_fma_f64 v[19:20], v[17:18], v[6:7], v[2:3]
	v_fma_f64 v[6:7], v[17:18], v[6:7], -v[2:3]
	v_fma_f64 v[23:24], v[0:1], 0.5, v[8:9]
	v_fma_f64 v[25:26], v[0:1], 0.5, -v[8:9]
	global_load_dwordx4 v[0:3], v[27:28], off offset:800
	v_fma_f64 v[8:9], -v[4:5], v[10:11], v[19:20]
	v_fma_f64 v[19:20], -v[4:5], v[10:11], v[6:7]
	v_fma_f64 v[6:7], v[17:18], v[4:5], v[23:24]
	v_fma_f64 v[17:18], -v[17:18], v[4:5], v[25:26]
	ds_write_b128 v242, v[6:9] offset:1632
	ds_write_b128 v12, v[17:20] offset:22848
	ds_read_b128 v[4:7], v242 offset:3264
	ds_read_b128 v[8:11], v12 offset:21216
	s_waitcnt lgkmcnt(0)
	v_add_f64 v[17:18], v[4:5], -v[8:9]
	v_add_f64 v[19:20], v[6:7], v[10:11]
	v_add_f64 v[6:7], v[6:7], -v[10:11]
	v_add_f64 v[4:5], v[4:5], v[8:9]
	v_mul_f64 v[17:18], v[17:18], 0.5
	v_mul_f64 v[19:20], v[19:20], 0.5
	v_mul_f64 v[6:7], v[6:7], 0.5
	s_waitcnt vmcnt(1)
	v_mul_f64 v[8:9], v[17:18], v[15:16]
	v_fma_f64 v[10:11], v[19:20], v[15:16], v[6:7]
	v_fma_f64 v[15:16], v[19:20], v[15:16], -v[6:7]
	v_fma_f64 v[23:24], v[4:5], 0.5, v[8:9]
	v_fma_f64 v[25:26], v[4:5], 0.5, -v[8:9]
	global_load_dwordx4 v[4:7], v[27:28], off offset:2432
	v_fma_f64 v[10:11], -v[13:14], v[17:18], v[10:11]
	v_fma_f64 v[15:16], -v[13:14], v[17:18], v[15:16]
	v_fma_f64 v[8:9], v[19:20], v[13:14], v[23:24]
	v_fma_f64 v[13:14], -v[19:20], v[13:14], v[25:26]
	ds_write_b128 v242, v[8:11] offset:3264
	ds_write_b128 v12, v[13:16] offset:21216
	ds_read_b128 v[8:11], v242 offset:4896
	ds_read_b128 v[13:16], v12 offset:19584
	s_waitcnt lgkmcnt(0)
	v_add_f64 v[17:18], v[8:9], -v[13:14]
	v_add_f64 v[19:20], v[10:11], v[15:16]
	v_add_f64 v[10:11], v[10:11], -v[15:16]
	v_add_f64 v[8:9], v[8:9], v[13:14]
	;; [unrolled: 23-line block ×3, first 2 shown]
	v_mul_f64 v[17:18], v[17:18], 0.5
	v_mul_f64 v[23:24], v[19:20], 0.5
	;; [unrolled: 1-line block ×3, first 2 shown]
	s_waitcnt vmcnt(1)
	v_mul_f64 v[13:14], v[17:18], v[6:7]
	v_fma_f64 v[19:20], v[23:24], v[6:7], v[2:3]
	v_fma_f64 v[2:3], v[23:24], v[6:7], -v[2:3]
	v_fma_f64 v[25:26], v[0:1], 0.5, v[13:14]
	v_fma_f64 v[27:28], v[0:1], 0.5, -v[13:14]
	v_add_co_u32_e64 v0, s[2:3], s2, v21
	v_addc_co_u32_e64 v1, s[2:3], 0, v22, s[2:3]
	global_load_dwordx4 v[13:16], v[0:1], off offset:1600
	v_fma_f64 v[19:20], -v[4:5], v[17:18], v[19:20]
	v_fma_f64 v[6:7], -v[4:5], v[17:18], v[2:3]
	v_fma_f64 v[17:18], v[23:24], v[4:5], v[25:26]
	v_fma_f64 v[4:5], -v[23:24], v[4:5], v[27:28]
	ds_write_b128 v242, v[17:20] offset:6528
	ds_write_b128 v12, v[4:7] offset:17952
	ds_read_b128 v[2:5], v242 offset:8160
	ds_read_b128 v[17:20], v12 offset:16320
	s_waitcnt lgkmcnt(0)
	v_add_f64 v[6:7], v[2:3], -v[17:18]
	v_add_f64 v[21:22], v[4:5], v[19:20]
	v_add_f64 v[4:5], v[4:5], -v[19:20]
	v_add_f64 v[2:3], v[2:3], v[17:18]
	v_mul_f64 v[6:7], v[6:7], 0.5
	v_mul_f64 v[19:20], v[21:22], 0.5
	;; [unrolled: 1-line block ×3, first 2 shown]
	s_waitcnt vmcnt(1)
	v_mul_f64 v[17:18], v[6:7], v[10:11]
	v_fma_f64 v[21:22], v[19:20], v[10:11], v[4:5]
	v_fma_f64 v[10:11], v[19:20], v[10:11], -v[4:5]
	v_fma_f64 v[23:24], v[2:3], 0.5, v[17:18]
	v_fma_f64 v[17:18], v[2:3], 0.5, -v[17:18]
	v_fma_f64 v[4:5], -v[8:9], v[6:7], v[21:22]
	v_fma_f64 v[10:11], -v[8:9], v[6:7], v[10:11]
	v_fma_f64 v[2:3], v[19:20], v[8:9], v[23:24]
	v_fma_f64 v[8:9], -v[19:20], v[8:9], v[17:18]
	ds_write_b128 v242, v[2:5] offset:8160
	ds_write_b128 v12, v[8:11] offset:16320
	ds_read_b128 v[2:5], v242 offset:9792
	ds_read_b128 v[6:9], v12 offset:14688
	s_waitcnt lgkmcnt(0)
	v_add_f64 v[10:11], v[2:3], -v[6:7]
	v_add_f64 v[17:18], v[4:5], v[8:9]
	v_add_f64 v[4:5], v[4:5], -v[8:9]
	v_add_f64 v[2:3], v[2:3], v[6:7]
	v_mul_f64 v[8:9], v[10:11], 0.5
	v_mul_f64 v[10:11], v[17:18], 0.5
	;; [unrolled: 1-line block ×3, first 2 shown]
	s_waitcnt vmcnt(0)
	v_mul_f64 v[6:7], v[8:9], v[15:16]
	v_fma_f64 v[17:18], v[10:11], v[15:16], v[4:5]
	v_fma_f64 v[15:16], v[10:11], v[15:16], -v[4:5]
	v_fma_f64 v[19:20], v[2:3], 0.5, v[6:7]
	v_fma_f64 v[6:7], v[2:3], 0.5, -v[6:7]
	v_fma_f64 v[4:5], -v[13:14], v[8:9], v[17:18]
	v_fma_f64 v[8:9], -v[13:14], v[8:9], v[15:16]
	v_fma_f64 v[2:3], v[10:11], v[13:14], v[19:20]
	v_fma_f64 v[6:7], -v[10:11], v[13:14], v[6:7]
	ds_write_b128 v242, v[2:5] offset:9792
	ds_write_b128 v12, v[6:9] offset:14688
	s_and_saveexec_b64 s[2:3], vcc
	s_cbranch_execz .LBB0_25
; %bb.24:
	global_load_dwordx4 v[0:3], v[0:1], off offset:3232
	ds_read_b128 v[4:7], v242 offset:11424
	ds_read_b128 v[8:11], v12 offset:13056
	s_waitcnt lgkmcnt(0)
	v_add_f64 v[13:14], v[4:5], -v[8:9]
	v_add_f64 v[15:16], v[6:7], v[10:11]
	v_add_f64 v[6:7], v[6:7], -v[10:11]
	v_add_f64 v[4:5], v[4:5], v[8:9]
	v_mul_f64 v[10:11], v[13:14], 0.5
	v_mul_f64 v[13:14], v[15:16], 0.5
	;; [unrolled: 1-line block ×3, first 2 shown]
	s_waitcnt vmcnt(0)
	v_mul_f64 v[8:9], v[10:11], v[2:3]
	v_fma_f64 v[15:16], v[13:14], v[2:3], v[6:7]
	v_fma_f64 v[2:3], v[13:14], v[2:3], -v[6:7]
	v_fma_f64 v[6:7], v[4:5], 0.5, v[8:9]
	v_fma_f64 v[17:18], v[4:5], 0.5, -v[8:9]
	v_fma_f64 v[4:5], -v[0:1], v[10:11], v[15:16]
	v_fma_f64 v[8:9], -v[0:1], v[10:11], v[2:3]
	v_fma_f64 v[2:3], v[13:14], v[0:1], v[6:7]
	v_fma_f64 v[6:7], -v[13:14], v[0:1], v[17:18]
	ds_write_b128 v242, v[2:5] offset:11424
	ds_write_b128 v12, v[6:9] offset:13056
.LBB0_25:
	s_or_b64 exec, exec, s[2:3]
	s_waitcnt lgkmcnt(0)
	s_barrier
	s_and_saveexec_b64 s[2:3], s[0:1]
	s_cbranch_execz .LBB0_28
; %bb.26:
	v_mul_lo_u32 v2, s5, v112
	v_mul_lo_u32 v3, s4, v113
	v_mad_u64_u32 v[0:1], s[0:1], s4, v112, 0
	v_mov_b32_e32 v6, s11
	v_lshl_add_u32 v12, v110, 4, 0
	v_add3_u32 v1, v1, v3, v2
	v_lshlrev_b64 v[0:1], 4, v[0:1]
	v_mov_b32_e32 v111, 0
	v_add_co_u32_e32 v0, vcc, s10, v0
	v_addc_co_u32_e32 v8, vcc, v6, v1, vcc
	v_lshlrev_b64 v[6:7], 4, v[108:109]
	ds_read_b128 v[2:5], v12
	v_add_co_u32_e32 v1, vcc, v0, v6
	v_addc_co_u32_e32 v0, vcc, v8, v7, vcc
	v_lshlrev_b64 v[6:7], 4, v[110:111]
	s_movk_i32 s0, 0x65
	v_add_co_u32_e32 v10, vcc, v1, v6
	v_addc_co_u32_e32 v11, vcc, v0, v7, vcc
	ds_read_b128 v[6:9], v12 offset:1632
	s_waitcnt lgkmcnt(1)
	global_store_dwordx4 v[10:11], v[2:5], off
	s_nop 0
	v_add_u32_e32 v2, 0x66, v110
	v_mov_b32_e32 v3, v111
	v_lshlrev_b64 v[2:3], 4, v[2:3]
	v_add_co_u32_e32 v2, vcc, v1, v2
	v_addc_co_u32_e32 v3, vcc, v0, v3, vcc
	s_waitcnt lgkmcnt(0)
	global_store_dwordx4 v[2:3], v[6:9], off
	ds_read_b128 v[2:5], v12 offset:3264
	v_add_u32_e32 v6, 0xcc, v110
	v_mov_b32_e32 v7, v111
	v_lshlrev_b64 v[6:7], 4, v[6:7]
	v_add_co_u32_e32 v10, vcc, v1, v6
	v_addc_co_u32_e32 v11, vcc, v0, v7, vcc
	ds_read_b128 v[6:9], v12 offset:4896
	s_waitcnt lgkmcnt(1)
	global_store_dwordx4 v[10:11], v[2:5], off
	s_nop 0
	v_add_u32_e32 v2, 0x132, v110
	v_mov_b32_e32 v3, v111
	v_lshlrev_b64 v[2:3], 4, v[2:3]
	v_add_co_u32_e32 v2, vcc, v1, v2
	v_addc_co_u32_e32 v3, vcc, v0, v3, vcc
	s_waitcnt lgkmcnt(0)
	global_store_dwordx4 v[2:3], v[6:9], off
	ds_read_b128 v[2:5], v12 offset:6528
	v_add_u32_e32 v6, 0x198, v110
	v_mov_b32_e32 v7, v111
	v_lshlrev_b64 v[6:7], 4, v[6:7]
	;; [unrolled: 17-line block ×7, first 2 shown]
	v_add_co_u32_e32 v6, vcc, v1, v6
	v_addc_co_u32_e32 v7, vcc, v0, v7, vcc
	v_cmp_eq_u32_e32 vcc, s0, v110
	s_waitcnt lgkmcnt(0)
	global_store_dwordx4 v[6:7], v[2:5], off
	s_and_b64 exec, exec, vcc
	s_cbranch_execz .LBB0_28
; %bb.27:
	ds_read_b128 v[2:5], v111 offset:24480
	v_add_co_u32_e32 v6, vcc, 0x5000, v1
	v_addc_co_u32_e32 v7, vcc, 0, v0, vcc
	s_waitcnt lgkmcnt(0)
	global_store_dwordx4 v[6:7], v[2:5], off offset:4000
.LBB0_28:
	s_endpgm
	.section	.rodata,"a",@progbits
	.p2align	6, 0x0
	.amdhsa_kernel fft_rtc_fwd_len1530_factors_17_3_6_5_wgs_102_tpt_102_halfLds_dp_op_CI_CI_unitstride_sbrr_R2C_dirReg
		.amdhsa_group_segment_fixed_size 0
		.amdhsa_private_segment_fixed_size 76
		.amdhsa_kernarg_size 104
		.amdhsa_user_sgpr_count 6
		.amdhsa_user_sgpr_private_segment_buffer 1
		.amdhsa_user_sgpr_dispatch_ptr 0
		.amdhsa_user_sgpr_queue_ptr 0
		.amdhsa_user_sgpr_kernarg_segment_ptr 1
		.amdhsa_user_sgpr_dispatch_id 0
		.amdhsa_user_sgpr_flat_scratch_init 0
		.amdhsa_user_sgpr_private_segment_size 0
		.amdhsa_uses_dynamic_stack 0
		.amdhsa_system_sgpr_private_segment_wavefront_offset 1
		.amdhsa_system_sgpr_workgroup_id_x 1
		.amdhsa_system_sgpr_workgroup_id_y 0
		.amdhsa_system_sgpr_workgroup_id_z 0
		.amdhsa_system_sgpr_workgroup_info 0
		.amdhsa_system_vgpr_workitem_id 0
		.amdhsa_next_free_vgpr 255
		.amdhsa_next_free_sgpr 64
		.amdhsa_reserve_vcc 1
		.amdhsa_reserve_flat_scratch 0
		.amdhsa_float_round_mode_32 0
		.amdhsa_float_round_mode_16_64 0
		.amdhsa_float_denorm_mode_32 3
		.amdhsa_float_denorm_mode_16_64 3
		.amdhsa_dx10_clamp 1
		.amdhsa_ieee_mode 1
		.amdhsa_fp16_overflow 0
		.amdhsa_exception_fp_ieee_invalid_op 0
		.amdhsa_exception_fp_denorm_src 0
		.amdhsa_exception_fp_ieee_div_zero 0
		.amdhsa_exception_fp_ieee_overflow 0
		.amdhsa_exception_fp_ieee_underflow 0
		.amdhsa_exception_fp_ieee_inexact 0
		.amdhsa_exception_int_div_zero 0
	.end_amdhsa_kernel
	.text
.Lfunc_end0:
	.size	fft_rtc_fwd_len1530_factors_17_3_6_5_wgs_102_tpt_102_halfLds_dp_op_CI_CI_unitstride_sbrr_R2C_dirReg, .Lfunc_end0-fft_rtc_fwd_len1530_factors_17_3_6_5_wgs_102_tpt_102_halfLds_dp_op_CI_CI_unitstride_sbrr_R2C_dirReg
                                        ; -- End function
	.section	.AMDGPU.csdata,"",@progbits
; Kernel info:
; codeLenInByte = 17396
; NumSgprs: 68
; NumVgprs: 255
; ScratchSize: 76
; MemoryBound: 0
; FloatMode: 240
; IeeeMode: 1
; LDSByteSize: 0 bytes/workgroup (compile time only)
; SGPRBlocks: 8
; VGPRBlocks: 63
; NumSGPRsForWavesPerEU: 68
; NumVGPRsForWavesPerEU: 255
; Occupancy: 1
; WaveLimiterHint : 1
; COMPUTE_PGM_RSRC2:SCRATCH_EN: 1
; COMPUTE_PGM_RSRC2:USER_SGPR: 6
; COMPUTE_PGM_RSRC2:TRAP_HANDLER: 0
; COMPUTE_PGM_RSRC2:TGID_X_EN: 1
; COMPUTE_PGM_RSRC2:TGID_Y_EN: 0
; COMPUTE_PGM_RSRC2:TGID_Z_EN: 0
; COMPUTE_PGM_RSRC2:TIDIG_COMP_CNT: 0
	.type	__hip_cuid_5be13f434687174d,@object ; @__hip_cuid_5be13f434687174d
	.section	.bss,"aw",@nobits
	.globl	__hip_cuid_5be13f434687174d
__hip_cuid_5be13f434687174d:
	.byte	0                               ; 0x0
	.size	__hip_cuid_5be13f434687174d, 1

	.ident	"AMD clang version 19.0.0git (https://github.com/RadeonOpenCompute/llvm-project roc-6.4.0 25133 c7fe45cf4b819c5991fe208aaa96edf142730f1d)"
	.section	".note.GNU-stack","",@progbits
	.addrsig
	.addrsig_sym __hip_cuid_5be13f434687174d
	.amdgpu_metadata
---
amdhsa.kernels:
  - .args:
      - .actual_access:  read_only
        .address_space:  global
        .offset:         0
        .size:           8
        .value_kind:     global_buffer
      - .offset:         8
        .size:           8
        .value_kind:     by_value
      - .actual_access:  read_only
        .address_space:  global
        .offset:         16
        .size:           8
        .value_kind:     global_buffer
      - .actual_access:  read_only
        .address_space:  global
        .offset:         24
        .size:           8
        .value_kind:     global_buffer
      - .actual_access:  read_only
        .address_space:  global
        .offset:         32
        .size:           8
        .value_kind:     global_buffer
      - .offset:         40
        .size:           8
        .value_kind:     by_value
      - .actual_access:  read_only
        .address_space:  global
        .offset:         48
        .size:           8
        .value_kind:     global_buffer
      - .actual_access:  read_only
        .address_space:  global
        .offset:         56
        .size:           8
        .value_kind:     global_buffer
      - .offset:         64
        .size:           4
        .value_kind:     by_value
      - .actual_access:  read_only
        .address_space:  global
        .offset:         72
        .size:           8
        .value_kind:     global_buffer
      - .actual_access:  read_only
        .address_space:  global
        .offset:         80
        .size:           8
        .value_kind:     global_buffer
      - .actual_access:  read_only
        .address_space:  global
        .offset:         88
        .size:           8
        .value_kind:     global_buffer
      - .actual_access:  write_only
        .address_space:  global
        .offset:         96
        .size:           8
        .value_kind:     global_buffer
    .group_segment_fixed_size: 0
    .kernarg_segment_align: 8
    .kernarg_segment_size: 104
    .language:       OpenCL C
    .language_version:
      - 2
      - 0
    .max_flat_workgroup_size: 102
    .name:           fft_rtc_fwd_len1530_factors_17_3_6_5_wgs_102_tpt_102_halfLds_dp_op_CI_CI_unitstride_sbrr_R2C_dirReg
    .private_segment_fixed_size: 76
    .sgpr_count:     68
    .sgpr_spill_count: 0
    .symbol:         fft_rtc_fwd_len1530_factors_17_3_6_5_wgs_102_tpt_102_halfLds_dp_op_CI_CI_unitstride_sbrr_R2C_dirReg.kd
    .uniform_work_group_size: 1
    .uses_dynamic_stack: false
    .vgpr_count:     255
    .vgpr_spill_count: 18
    .wavefront_size: 64
amdhsa.target:   amdgcn-amd-amdhsa--gfx906
amdhsa.version:
  - 1
  - 2
...

	.end_amdgpu_metadata
